;; amdgpu-corpus repo=ROCm/rocFFT kind=compiled arch=gfx950 opt=O3
	.text
	.amdgcn_target "amdgcn-amd-amdhsa--gfx950"
	.amdhsa_code_object_version 6
	.protected	bluestein_single_back_len272_dim1_sp_op_CI_CI ; -- Begin function bluestein_single_back_len272_dim1_sp_op_CI_CI
	.globl	bluestein_single_back_len272_dim1_sp_op_CI_CI
	.p2align	8
	.type	bluestein_single_back_len272_dim1_sp_op_CI_CI,@function
bluestein_single_back_len272_dim1_sp_op_CI_CI: ; @bluestein_single_back_len272_dim1_sp_op_CI_CI
; %bb.0:
	s_load_dwordx4 s[12:15], s[0:1], 0x28
	v_mul_u32_u24_e32 v1, 0xf10, v0
	v_lshrrev_b32_e32 v2, 16, v1
	v_mad_u64_u32 v[82:83], s[2:3], s2, 7, v[2:3]
	v_mov_b32_e32 v99, 0
	v_mov_b32_e32 v83, v99
	s_waitcnt lgkmcnt(0)
	v_cmp_gt_u64_e32 vcc, s[12:13], v[82:83]
	s_and_saveexec_b64 s[2:3], vcc
	s_cbranch_execz .LBB0_10
; %bb.1:
	s_load_dwordx4 s[4:7], s[0:1], 0x18
	s_load_dwordx4 s[8:11], s[0:1], 0x0
	s_load_dwordx2 s[12:13], s[0:1], 0x38
	v_mul_lo_u16_e32 v1, 17, v2
	v_sub_u16_e32 v174, v0, v1
	s_waitcnt lgkmcnt(0)
	s_load_dwordx4 s[0:3], s[4:5], 0x0
	v_mov_b32_e32 v4, s14
	v_mov_b32_e32 v5, s15
	;; [unrolled: 1-line block ×3, first 2 shown]
	v_lshlrev_b32_e32 v98, 3, v174
	s_waitcnt lgkmcnt(0)
	v_mad_u64_u32 v[0:1], s[4:5], s2, v82, 0
	v_mov_b32_e32 v2, v1
	v_mad_u64_u32 v[2:3], s[2:3], s3, v82, v[2:3]
	v_mov_b32_e32 v1, v2
	;; [unrolled: 2-line block ×4, first 2 shown]
	v_lshl_add_u64 v[0:1], v[0:1], 3, v[4:5]
	v_lshl_add_u64 v[0:1], v[2:3], 3, v[0:1]
	global_load_dwordx2 v[4:5], v[0:1], off
	v_mad_u64_u32 v[0:1], s[2:3], s0, v34, v[0:1]
	s_mulk_i32 s1, 0x88
	v_add_u32_e32 v1, s1, v1
	global_load_dwordx2 v[6:7], v[0:1], off
	v_mad_u64_u32 v[0:1], s[2:3], s0, v34, v[0:1]
	v_add_u32_e32 v1, s1, v1
	v_mad_u64_u32 v[2:3], s[2:3], s0, v34, v[0:1]
	v_add_u32_e32 v3, s1, v3
	;; [unrolled: 2-line block ×3, first 2 shown]
	global_load_dwordx2 v[96:97], v98, s[8:9]
	global_load_dwordx2 v[94:95], v98, s[8:9] offset:136
	global_load_dwordx2 v[90:91], v98, s[8:9] offset:272
	;; [unrolled: 1-line block ×3, first 2 shown]
	global_load_dwordx2 v[10:11], v[0:1], off
	global_load_dwordx2 v[12:13], v[2:3], off
	;; [unrolled: 1-line block ×3, first 2 shown]
	v_mad_u64_u32 v[0:1], s[2:3], s0, v34, v[8:9]
	v_add_u32_e32 v1, s1, v1
	global_load_dwordx2 v[8:9], v[0:1], off
	v_mad_u64_u32 v[0:1], s[2:3], s0, v34, v[0:1]
	v_add_u32_e32 v1, s1, v1
	global_load_dwordx2 v[92:93], v98, s[8:9] offset:544
	global_load_dwordx2 v[16:17], v[0:1], off
	global_load_dwordx2 v[88:89], v98, s[8:9] offset:680
	v_mad_u64_u32 v[0:1], s[2:3], s0, v34, v[0:1]
	v_add_u32_e32 v1, s1, v1
	global_load_dwordx2 v[18:19], v[0:1], off
	global_load_dwordx2 v[84:85], v98, s[8:9] offset:816
	global_load_dwordx2 v[78:79], v98, s[8:9] offset:952
	v_mad_u64_u32 v[0:1], s[2:3], s0, v34, v[0:1]
	v_add_u32_e32 v1, s1, v1
	global_load_dwordx2 v[20:21], v[0:1], off
	v_mad_u64_u32 v[0:1], s[2:3], s0, v34, v[0:1]
	v_add_u32_e32 v1, s1, v1
	global_load_dwordx2 v[22:23], v[0:1], off
	global_load_dwordx2 v[80:81], v98, s[8:9] offset:1088
	v_mad_u64_u32 v[0:1], s[2:3], s0, v34, v[0:1]
	v_add_u32_e32 v1, s1, v1
	global_load_dwordx2 v[76:77], v98, s[8:9] offset:1224
	global_load_dwordx2 v[24:25], v[0:1], off
	v_mad_u64_u32 v[0:1], s[2:3], s0, v34, v[0:1]
	v_add_u32_e32 v1, s1, v1
	global_load_dwordx2 v[74:75], v98, s[8:9] offset:1360
	global_load_dwordx2 v[26:27], v[0:1], off
	global_load_dwordx2 v[72:73], v98, s[8:9] offset:1496
	v_mad_u64_u32 v[0:1], s[2:3], s0, v34, v[0:1]
	v_add_u32_e32 v1, s1, v1
	global_load_dwordx2 v[28:29], v[0:1], off
	v_mad_u64_u32 v[0:1], s[2:3], s0, v34, v[0:1]
	v_add_u32_e32 v1, s1, v1
	global_load_dwordx2 v[70:71], v98, s[8:9] offset:1632
	global_load_dwordx2 v[30:31], v[0:1], off
	global_load_dwordx2 v[68:69], v98, s[8:9] offset:1768
	v_mad_u64_u32 v[0:1], s[2:3], s0, v34, v[0:1]
	v_add_u32_e32 v1, s1, v1
	global_load_dwordx2 v[32:33], v[0:1], off
	global_load_dwordx2 v[66:67], v98, s[8:9] offset:1904
	v_mad_u64_u32 v[0:1], s[2:3], s0, v34, v[0:1]
	v_add_u32_e32 v1, s1, v1
	global_load_dwordx2 v[34:35], v[0:1], off
	global_load_dwordx2 v[64:65], v98, s[8:9] offset:2040
	s_mov_b32 s0, 0x24924925
	v_mul_hi_u32 v0, v82, s0
	v_sub_u32_e32 v1, v82, v0
	v_lshrrev_b32_e32 v1, 1, v1
	v_add_u32_e32 v0, v1, v0
	v_lshrrev_b32_e32 v0, 2, v0
	v_mul_lo_u32 v0, v0, 7
	v_sub_u32_e32 v0, v82, v0
	v_mul_u32_u24_e32 v2, 0x110, v0
	v_lshlrev_b32_e32 v175, 3, v2
	v_add_u32_e32 v83, v98, v175
	s_load_dwordx4 s[4:7], s[6:7], 0x0
	s_mov_b32 s0, 0x3f3504f3
	s_mov_b32 s1, 2.0
	s_mov_b32 s14, 0x3f6c835e
	s_mov_b32 s2, 0x3ec3ef15
	;; [unrolled: 1-line block ×3, first 2 shown]
	v_lshl_add_u32 v176, v174, 7, v175
	v_cmp_gt_u16_e32 vcc, 16, v174
	s_waitcnt vmcnt(28)
	v_mul_f32_e32 v3, v6, v95
	v_mul_f32_e32 v0, v5, v97
	v_fmac_f32_e32 v0, v4, v96
	v_mul_f32_e32 v1, v4, v97
	v_mul_f32_e32 v4, v7, v95
	v_fma_f32 v1, v5, v96, -v1
	v_fmac_f32_e32 v4, v6, v94
	v_fma_f32 v5, v7, v94, -v3
	ds_write2_b64 v83, v[0:1], v[4:5] offset1:17
	s_waitcnt vmcnt(25)
	v_mul_f32_e32 v0, v11, v91
	v_mul_f32_e32 v1, v10, v91
	s_waitcnt vmcnt(24)
	v_mul_f32_e32 v4, v13, v87
	v_mul_f32_e32 v3, v12, v87
	v_fmac_f32_e32 v0, v10, v90
	v_fma_f32 v1, v11, v90, -v1
	v_fmac_f32_e32 v4, v12, v86
	v_fma_f32 v5, v13, v86, -v3
	ds_write2_b64 v83, v[0:1], v[4:5] offset0:34 offset1:51
	s_waitcnt vmcnt(21)
	v_mul_f32_e32 v0, v15, v93
	v_mul_f32_e32 v1, v14, v93
	s_waitcnt vmcnt(19)
	v_mul_f32_e32 v4, v9, v89
	v_mul_f32_e32 v3, v8, v89
	v_fmac_f32_e32 v0, v14, v92
	v_fma_f32 v1, v15, v92, -v1
	v_fmac_f32_e32 v4, v8, v88
	v_fma_f32 v5, v9, v88, -v3
	ds_write2_b64 v83, v[0:1], v[4:5] offset0:68 offset1:85
	s_waitcnt vmcnt(17)
	v_mul_f32_e32 v0, v17, v85
	v_mul_f32_e32 v1, v16, v85
	s_waitcnt vmcnt(16)
	v_mul_f32_e32 v4, v19, v79
	v_mul_f32_e32 v3, v18, v79
	v_fmac_f32_e32 v0, v16, v84
	v_fma_f32 v1, v17, v84, -v1
	v_fmac_f32_e32 v4, v18, v78
	v_fma_f32 v5, v19, v78, -v3
	ds_write2_b64 v83, v[0:1], v[4:5] offset0:102 offset1:119
	s_waitcnt vmcnt(13)
	v_mul_f32_e32 v0, v21, v81
	v_mul_f32_e32 v1, v20, v81
	s_waitcnt vmcnt(12)
	v_mul_f32_e32 v4, v23, v77
	v_mul_f32_e32 v3, v22, v77
	v_fmac_f32_e32 v0, v20, v80
	v_fma_f32 v1, v21, v80, -v1
	v_fmac_f32_e32 v4, v22, v76
	v_fma_f32 v5, v23, v76, -v3
	ds_write2_b64 v83, v[0:1], v[4:5] offset0:136 offset1:153
	s_waitcnt vmcnt(10)
	v_mul_f32_e32 v0, v25, v75
	v_mul_f32_e32 v1, v24, v75
	s_waitcnt vmcnt(8)
	v_mul_f32_e32 v4, v27, v73
	v_mul_f32_e32 v3, v26, v73
	v_fmac_f32_e32 v0, v24, v74
	v_fma_f32 v1, v25, v74, -v1
	v_fmac_f32_e32 v4, v26, v72
	v_fma_f32 v5, v27, v72, -v3
	ds_write2_b64 v83, v[0:1], v[4:5] offset0:170 offset1:187
	s_waitcnt vmcnt(6)
	v_mul_f32_e32 v0, v29, v71
	v_mul_f32_e32 v1, v28, v71
	s_waitcnt vmcnt(4)
	v_mul_f32_e32 v4, v31, v69
	v_mul_f32_e32 v3, v30, v69
	v_fmac_f32_e32 v0, v28, v70
	v_fma_f32 v1, v29, v70, -v1
	v_fmac_f32_e32 v4, v30, v68
	v_fma_f32 v5, v31, v68, -v3
	ds_write2_b64 v83, v[0:1], v[4:5] offset0:204 offset1:221
	s_waitcnt vmcnt(2)
	v_mul_f32_e32 v0, v33, v67
	v_mul_f32_e32 v1, v32, v67
	s_waitcnt vmcnt(0)
	v_mul_f32_e32 v4, v35, v65
	v_mul_f32_e32 v3, v34, v65
	v_fmac_f32_e32 v0, v32, v66
	v_fma_f32 v1, v33, v66, -v1
	v_fmac_f32_e32 v4, v34, v64
	v_fma_f32 v5, v35, v64, -v3
	ds_write2_b64 v83, v[0:1], v[4:5] offset0:238 offset1:255
	s_waitcnt lgkmcnt(0)
	s_barrier
	ds_read2_b64 v[4:7], v83 offset1:17
	ds_read2_b64 v[8:11], v83 offset0:34 offset1:51
	ds_read2_b64 v[12:15], v83 offset0:68 offset1:85
	;; [unrolled: 1-line block ×7, first 2 shown]
	s_waitcnt lgkmcnt(6)
	v_mov_b32_e32 v0, v8
	s_waitcnt lgkmcnt(4)
	v_mov_b32_e32 v1, v16
	;; [unrolled: 2-line block ×4, first 2 shown]
	v_sub_f32_e32 v40, v17, v25
	v_pk_add_f32 v[24:25], v[0:1], v[42:43] neg_lo:[0,1] neg_hi:[0,1]
	v_pk_add_f32 v[30:31], v[10:11], v[30:31] neg_lo:[0,1] neg_hi:[0,1]
	v_pk_fma_f32 v[42:43], v[0:1], 2.0, v[24:25] op_sel_hi:[1,0,1] neg_lo:[0,0,1] neg_hi:[0,0,1]
	v_fma_f32 v3, v10, 2.0, -v30
	v_fma_f32 v0, v11, 2.0, -v31
	v_pk_add_f32 v[10:11], v[18:19], v[26:27] neg_lo:[0,1] neg_hi:[0,1]
	s_waitcnt lgkmcnt(0)
	v_mov_b32_e32 v46, v32
	v_fma_f32 v8, v18, 2.0, -v10
	v_fma_f32 v16, v19, 2.0, -v11
	v_pk_add_f32 v[18:19], v[30:31], v[10:11] op_sel:[0,1] op_sel_hi:[1,0]
	v_pk_add_f32 v[10:11], v[30:31], v[10:11] op_sel:[0,1] op_sel_hi:[1,0] neg_lo:[0,1] neg_hi:[0,1]
	v_mov_b32_e32 v47, v21
	v_mov_b32_e32 v11, v19
	v_pk_fma_f32 v[26:27], v[30:31], 2.0, v[10:11] op_sel_hi:[1,0,1] neg_lo:[0,0,1] neg_hi:[0,0,1]
	v_mov_b32_e32 v30, v12
	v_mov_b32_e32 v31, v5
	v_pk_add_f32 v[30:31], v[30:31], v[46:47] neg_lo:[0,1] neg_hi:[0,1]
	v_mov_b32_e32 v46, v14
	v_mov_b32_e32 v47, v7
	;; [unrolled: 1-line block ×4, first 2 shown]
	v_fma_f32 v1, v17, 2.0, -v40
	v_add_f32_e32 v17, v6, v6
	v_add_f32_e32 v45, v7, v7
	v_pk_add_f32 v[46:47], v[46:47], v[48:49] neg_lo:[0,1] neg_hi:[0,1]
	v_mov_b32_e32 v48, v15
	v_mov_b32_e32 v49, v6
	;; [unrolled: 1-line block ×4, first 2 shown]
	v_pk_add_f32 v[6:7], v[48:49], v[6:7] neg_lo:[0,1] neg_hi:[0,1]
	v_sub_f32_e32 v36, v0, v16
	v_mov_b32_e32 v16, v7
	v_mul_f32_e32 v10, 0x3f3504f3, v10
	v_mul_f32_e32 v18, 0x3f3504f3, v19
	v_fma_f32 v11, v14, 2.0, -v46
	v_fma_f32 v19, v15, 2.0, -v6
	v_pk_add_f32 v[14:15], v[16:17], v[6:7] neg_lo:[0,1] neg_hi:[0,1]
	v_mov_b32_e32 v44, v47
	v_pk_add_f32 v[16:17], v[44:45], v[46:47]
	v_pk_add_f32 v[22:23], v[44:45], v[46:47] neg_lo:[0,1] neg_hi:[0,1]
	v_pk_add_f32 v[34:35], v[14:15], v[10:11]
	v_fma_f32 v48, v7, 2.0, -v14
	v_pk_add_f32 v[6:7], v[14:15], v[10:11] neg_lo:[0,1] neg_hi:[0,1]
	v_fma_f32 v50, v0, 2.0, -v36
	v_mov_b32_e32 v41, v29
	v_pk_add_f32 v[28:29], v[16:17], v[18:19]
	v_pk_add_f32 v[44:45], v[22:23], v[18:19] neg_lo:[0,1] neg_hi:[0,1]
	v_mov_b32_e32 v19, v36
	v_mov_b32_e32 v35, v7
	;; [unrolled: 1-line block ×3, first 2 shown]
	v_pk_add_f32 v[18:19], v[34:35], v[18:19] neg_lo:[0,1] neg_hi:[0,1]
	v_pk_add_f32 v[34:35], v[42:43], v[0:1] neg_lo:[0,1] neg_hi:[0,1]
	v_sub_f32_e32 v0, v3, v8
	v_mov_b32_e32 v11, v0
	v_mov_b32_e32 v29, v45
	;; [unrolled: 1-line block ×3, first 2 shown]
	v_fma_f32 v35, v3, 2.0, -v0
	v_pk_mul_f32 v[26:27], v[26:27], s[0:1] op_sel_hi:[1,0]
	v_pk_add_f32 v[10:11], v[28:29], v[10:11]
	v_fma_f32 v3, v47, 2.0, -v16
	v_pk_add_f32 v[28:29], v[8:9], v[40:41] neg_lo:[0,1] neg_hi:[0,1]
	v_add_f32_e32 v39, v5, v5
	v_fma_f32 v5, v42, 2.0, -v34
	v_mov_b32_e32 v38, v31
	v_sub_f32_e32 v0, v3, v27
	v_add_f32_e32 v17, v29, v25
	v_add_f32_e32 v41, v15, v15
	v_sub_f32_e32 v40, v48, v26
	v_mov_b32_e32 v6, v27
	v_mov_b32_e32 v15, v7
	;; [unrolled: 1-line block ×6, first 2 shown]
	v_add_f32_e32 v22, v0, v26
	v_pk_add_f32 v[24:25], v[38:39], v[30:31]
	v_pk_add_f32 v[38:39], v[38:39], v[30:31] neg_lo:[0,1] neg_hi:[0,1]
	v_pk_fma_f32 v[8:9], v[8:9], 2.0, v[28:29] op_sel_hi:[1,0,1] neg_lo:[0,0,1] neg_hi:[0,0,1]
	v_fma_f32 v0, v29, 2.0, -v17
	v_mov_b32_e32 v29, v34
	v_pk_add_f32 v[40:41], v[40:41], v[6:7] neg_lo:[0,1] neg_hi:[0,1]
	v_mov_b32_e32 v34, 0x3f6c835e
	v_pk_add_f32 v[32:33], v[42:43], v[32:33] neg_lo:[0,1] neg_hi:[0,1]
	v_pk_fma_f32 v[14:15], v[14:15], 2.0, v[18:19] op_sel_hi:[1,0,1] neg_lo:[0,0,1] neg_hi:[0,0,1]
	v_mul_f32_e32 v6, 0x3f3504f3, v17
	v_pk_add_f32 v[42:43], v[40:41], v[34:35] neg_lo:[0,1] neg_hi:[0,1]
	v_fma_f32 v7, v13, 2.0, -v32
	v_mul_f32_e32 v38, 0x3ec3ef15, v14
	v_add_f32_e32 v37, v4, v4
	v_fma_f32 v23, v23, 2.0, -v45
	v_mov_b32_e32 v17, v45
	v_pk_mul_f32 v[44:45], v[40:41], s[14:15]
	v_fma_f32 v46, v41, 2.0, -v43
	v_fma_f32 v52, v48, 2.0, -v40
	v_mul_f32_e32 v4, 0x3ec3ef15, v40
	v_pk_add_f32 v[40:41], v[38:39], v[6:7] neg_lo:[0,1] neg_hi:[0,1]
	v_pk_add_f32 v[48:49], v[24:25], v[6:7]
	v_mul_f32_e32 v28, 0x3f3504f3, v28
	v_mov_b32_e32 v49, v41
	v_pk_fma_f32 v[16:17], v[16:17], 2.0, v[10:11] op_sel_hi:[1,0,1] neg_lo:[0,0,1] neg_hi:[0,0,1]
	v_pk_add_f32 v[54:55], v[48:49], v[28:29]
	v_mov_b32_e32 v25, v41
	v_mov_b32_e32 v45, v43
	v_pk_mul_f32 v[42:43], v[16:17], s[2:3]
	v_pk_fma_f32 v[48:49], v[24:25], 2.0, v[54:55] op_sel_hi:[1,0,1] neg_lo:[0,0,1] neg_hi:[0,0,1]
	v_mul_f32_e32 v42, 0x3f6c835e, v16
	s_mov_b32 s15, s0
	v_pk_fma_f32 v[16:17], v[16:17], s[2:3], v[48:49] neg_lo:[1,0,0] neg_hi:[1,0,0]
	v_fma_f32 v27, v39, 2.0, -v41
	v_pk_fma_f32 v[100:101], v[14:15], s[14:15], v[16:17]
	v_pk_mul_f32 v[14:15], v[14:15], s[14:15]
	v_mov_b32_e32 v36, v33
	v_mov_b32_e32 v39, v15
	v_pk_mul_f32 v[14:15], v[10:11], s[14:15]
	v_fma_f32 v21, v12, 2.0, -v30
	v_pk_add_f32 v[16:17], v[36:37], v[32:33] neg_lo:[0,1] neg_hi:[0,1]
	v_mov_b32_e32 v20, v28
	v_mul_f32_e32 v14, 0x3ec3ef15, v10
	v_pk_fma_f32 v[10:11], v[10:11], s[14:15], v[54:55]
	v_pk_add_f32 v[28:29], v[16:17], v[28:29]
	v_pk_add_f32 v[20:21], v[16:17], v[20:21] neg_lo:[0,1] neg_hi:[0,1]
	v_pk_fma_f32 v[102:103], v[18:19], s[2:3], v[10:11]
	v_mov_b32_e32 v30, v33
	v_mov_b32_e32 v10, v16
	;; [unrolled: 1-line block ×3, first 2 shown]
	v_add_f32_e32 v7, v17, v17
	v_mov_b32_e32 v29, v21
	v_mov_b32_e32 v17, v21
	v_pk_mul_f32 v[20:21], v[18:19], s[2:3]
	v_mov_b32_e32 v35, v50
	v_pk_fma_f32 v[10:11], v[30:31], 2.0, v[10:11] op_sel_hi:[1,0,1] neg_lo:[0,0,1] neg_hi:[0,0,1]
	v_mul_f32_e32 v0, 0x3f3504f3, v0
	v_mul_f32_e32 v20, 0x3f6c835e, v18
	v_pk_add_f32 v[34:35], v[22:23], v[34:35] neg_lo:[0,1] neg_hi:[0,1]
	v_mov_b32_e32 v18, v11
	v_mov_b32_e32 v19, v9
	v_mov_b32_e32 v34, v0
	v_pk_add_f32 v[0:1], v[18:19], v[0:1] neg_lo:[0,1] neg_hi:[0,1]
	v_fma_f32 v3, v3, 2.0, -v22
	v_pk_fma_f32 v[18:19], v[8:9], s[0:1], v[0:1]
	v_pk_fma_f32 v[24:25], v[8:9], s[0:1], v[0:1] neg_lo:[0,0,1] neg_hi:[0,0,1]
	v_pk_fma_f32 v[8:9], v[8:9], s[0:1], v[10:11] neg_lo:[1,0,0] neg_hi:[1,0,0]
	v_mul_f32_e32 v26, 0x3ec3ef15, v22
	v_fma_f32 v47, v23, 2.0, -v35
	v_pk_mul_f32 v[22:23], v[22:23], s[14:15]
	v_mov_b32_e32 v24, v18
	v_mov_b32_e32 v9, v7
	;; [unrolled: 1-line block ×6, first 2 shown]
	v_pk_add_f32 v[0:1], v[28:29], v[6:7] neg_lo:[0,1] neg_hi:[0,1]
	v_pk_add_f32 v[6:7], v[26:27], v[18:19]
	v_pk_add_f32 v[18:19], v[26:27], v[24:25] neg_lo:[0,1] neg_hi:[0,1]
	v_pk_add_f32 v[8:9], v[8:9], v[34:35] neg_lo:[0,1] neg_hi:[0,1]
	v_mov_b32_e32 v7, v19
	v_pk_add_f32 v[104:105], v[6:7], v[44:45]
	v_pk_add_f32 v[6:7], v[8:9], v[4:5]
	v_pk_add_f32 v[4:5], v[8:9], v[4:5] neg_lo:[0,1] neg_hi:[0,1]
	v_mov_b32_e32 v30, v8
	v_mov_b32_e32 v7, v5
	v_pk_add_f32 v[50:51], v[6:7], v[22:23] neg_lo:[0,1] neg_hi:[0,1]
	v_fma_f32 v25, v27, 2.0, -v19
	v_fma_f32 v24, v9, 2.0, -v5
	v_mov_b32_e32 v6, v50
	v_mov_b32_e32 v7, v104
	v_pk_add_f32 v[56:57], v[24:25], v[46:47] neg_lo:[0,1] neg_hi:[0,1]
	v_pk_fma_f32 v[46:47], v[30:31], 2.0, v[6:7] op_sel_hi:[1,0,1] neg_lo:[0,0,1] neg_hi:[0,0,1]
	v_pk_add_f32 v[6:7], v[0:1], v[20:21]
	v_pk_fma_f32 v[10:11], v[10:11], 2.0, v[30:31] op_sel_hi:[1,0,1] neg_lo:[0,0,1] neg_hi:[0,0,1]
	v_pk_fma_f32 v[16:17], v[16:17], 2.0, v[0:1] op_sel_hi:[1,0,1] neg_lo:[0,0,1] neg_hi:[0,0,1]
	v_mov_b32_e32 v18, v5
	v_mov_b32_e32 v4, v51
	v_mov_b32_e32 v5, v105
	v_pk_add_f32 v[62:63], v[6:7], v[14:15] neg_lo:[0,1] neg_hi:[0,1]
	v_mul_f32_e32 v12, 0x3ec3ef15, v3
	v_fmamk_f32 v40, v3, 0xbf6c835e, v11
	v_pk_add_f32 v[26:27], v[16:17], v[38:39] neg_lo:[0,1] neg_hi:[0,1]
	v_pk_fma_f32 v[44:45], v[18:19], 2.0, v[4:5] op_sel_hi:[1,0,1] neg_lo:[0,0,1] neg_hi:[0,0,1]
	v_fmamk_f32 v4, v52, 0xbf6c835e, v10
	v_add_f32_e32 v5, v0, v0
	v_mov_b32_e32 v13, v62
	v_fmac_f32_e32 v40, 0x3ec3ef15, v52
	v_pk_add_f32 v[42:43], v[26:27], v[42:43] neg_lo:[0,1] neg_hi:[0,1]
	v_mov_b32_e32 v26, v17
	v_mov_b32_e32 v27, v49
	;; [unrolled: 1-line block ×3, first 2 shown]
	v_pk_add_f32 v[48:49], v[4:5], v[12:13] neg_lo:[0,1] neg_hi:[0,1]
	v_mov_b32_e32 v28, v43
	v_mov_b32_e32 v29, v101
	v_mov_b32_e32 v6, v1
	v_mov_b32_e32 v7, v55
	v_mov_b32_e32 v8, v63
	v_mov_b32_e32 v9, v103
	v_mov_b32_e32 v0, v48
	v_mov_b32_e32 v1, v40
	v_pk_fma_f32 v[36:37], v[26:27], 2.0, v[28:29] op_sel_hi:[1,0,1] neg_lo:[0,0,1] neg_hi:[0,0,1]
	v_mov_b32_e32 v26, v42
	v_mov_b32_e32 v27, v100
	v_pk_fma_f32 v[32:33], v[24:25], 2.0, v[56:57] op_sel_hi:[1,0,1] neg_lo:[0,0,1] neg_hi:[0,0,1]
	v_pk_fma_f32 v[52:53], v[6:7], 2.0, v[8:9] op_sel_hi:[1,0,1] neg_lo:[0,0,1] neg_hi:[0,0,1]
	v_pk_fma_f32 v[34:35], v[10:11], 2.0, v[0:1] op_sel_hi:[1,0,1] neg_lo:[0,0,1] neg_hi:[0,0,1]
	v_mov_b32_e32 v4, v43
	v_mov_b32_e32 v5, v101
	;; [unrolled: 1-line block ×4, first 2 shown]
	v_pk_fma_f32 v[38:39], v[16:17], 2.0, v[26:27] op_sel_hi:[1,0,1] neg_lo:[0,0,1] neg_hi:[0,0,1]
	v_fma_f32 v60, v54, 2.0, -v102
	s_barrier
	ds_write_b128 v176, v[32:35]
	ds_write_b128 v176, v[36:39] offset:16
	ds_write_b128 v176, v[44:47] offset:32
	;; [unrolled: 1-line block ×3, first 2 shown]
	v_mov_b32_e32 v4, v51
	v_mov_b32_e32 v5, v105
	;; [unrolled: 1-line block ×4, first 2 shown]
	v_lshlrev_b32_e32 v0, 4, v174
	v_mov_b32_e32 v54, v49
	v_mov_b32_e32 v55, v60
	;; [unrolled: 1-line block ×4, first 2 shown]
	ds_write_b128 v176, v[4:7] offset:96
	v_mov_b32_e32 v4, v63
	v_mov_b32_e32 v5, v103
	;; [unrolled: 1-line block ×4, first 2 shown]
	v_cmp_lt_u16_e64 s[0:1], 15, v174
	ds_write_b128 v176, v[52:55] offset:48
	ds_write_b128 v176, v[56:59] offset:64
	;; [unrolled: 1-line block ×3, first 2 shown]
	s_waitcnt lgkmcnt(0)
	s_barrier
	s_and_saveexec_b64 s[2:3], s[0:1]
	s_xor_b64 s[2:3], exec, s[2:3]
	s_or_saveexec_b64 s[2:3], s[2:3]
	v_or_b32_e32 v1, v2, v174
	v_lshlrev_b32_e32 v177, 3, v1
                                        ; implicit-def: $vgpr106
                                        ; implicit-def: $vgpr54
	s_xor_b64 exec, exec, s[2:3]
	s_cbranch_execz .LBB0_3
; %bb.2:
	ds_read2_b64 v[32:35], v177 offset1:16
	ds_read2_b64 v[36:39], v177 offset0:32 offset1:48
	ds_read2_b64 v[44:47], v177 offset0:64 offset1:80
	;; [unrolled: 1-line block ×7, first 2 shown]
	ds_read_b64 v[106:107], v177 offset:2048
	s_waitcnt lgkmcnt(4)
	v_mov_b32_e32 v102, v63
	v_mov_b32_e32 v103, v61
	s_waitcnt lgkmcnt(2)
	v_mov_b32_e32 v104, v51
	v_mov_b32_e32 v105, v49
	;; [unrolled: 3-line block ×3, first 2 shown]
	v_mov_b32_e32 v63, v60
	v_mov_b32_e32 v51, v48
	;; [unrolled: 1-line block ×7, first 2 shown]
	s_waitcnt lgkmcnt(0)
	v_mov_b32_e32 v54, v107
.LBB0_3:
	s_or_b64 exec, exec, s[2:3]
	v_and_b32_e32 v0, 0xf0, v0
	v_lshlrev_b32_e32 v41, 3, v0
	global_load_dwordx4 v[20:23], v41, s[10:11]
	global_load_dwordx4 v[16:19], v41, s[10:11] offset:16
	global_load_dwordx4 v[12:15], v41, s[10:11] offset:32
	;; [unrolled: 1-line block ×7, first 2 shown]
	s_mov_b32 s16, 0xbeb8f4ab
	s_mov_b32 s2, 0x3f6eb680
	;; [unrolled: 1-line block ×16, first 2 shown]
	s_waitcnt vmcnt(7)
	v_pk_mul_f32 v[138:139], v[34:35], v[20:21] op_sel:[1,1] op_sel_hi:[1,0]
	v_pk_mul_f32 v[58:59], v[36:37], v[22:23] op_sel:[1,0]
	s_waitcnt vmcnt(6)
	v_pk_mul_f32 v[108:109], v[38:39], v[16:17] op_sel:[1,1] op_sel_hi:[1,0]
	v_pk_mul_f32 v[114:115], v[44:45], v[18:19] op_sel:[1,0]
	s_waitcnt vmcnt(5)
	v_pk_mul_f32 v[116:117], v[46:47], v[12:13] op_sel:[1,0]
	s_waitcnt vmcnt(4)
	;; [unrolled: 2-line block ×4, first 2 shown]
	v_pk_mul_f32 v[54:55], v[54:55], v[30:31] op_sel_hi:[0,1]
	v_pk_mul_f32 v[126:127], v[100:101], v[8:9] op_sel_hi:[0,1]
	v_pk_mul_f32 v[128:129], v[104:105], v[10:11] op_sel:[1,0]
	v_pk_mul_f32 v[104:105], v[104:105], v[24:25] op_sel_hi:[0,1]
	v_pk_mul_f32 v[130:131], v[102:103], v[28:29] op_sel_hi:[0,1]
	v_pk_fma_f32 v[132:133], v[106:107], v[30:31], v[54:55] op_sel:[0,0,1] op_sel_hi:[1,1,0] neg_lo:[0,0,1] neg_hi:[0,0,1]
	v_pk_fma_f32 v[54:55], v[106:107], v[30:31], v[54:55] op_sel:[0,0,1] op_sel_hi:[0,1,0]
	v_pk_fma_f32 v[140:141], v[34:35], v[20:21], v[138:139] neg_lo:[0,0,1] neg_hi:[0,0,1]
	v_pk_fma_f32 v[34:35], v[34:35], v[20:21], v[138:139] op_sel_hi:[0,1,1]
	v_pk_fma_f32 v[110:111], v[36:37], v[22:23], v[58:59] op_sel:[0,0,1] op_sel_hi:[1,1,0] neg_lo:[0,0,1] neg_hi:[0,0,1]
	v_pk_fma_f32 v[36:37], v[36:37], v[22:23], v[58:59] op_sel:[0,0,1] op_sel_hi:[0,1,0]
	v_pk_fma_f32 v[112:113], v[38:39], v[16:17], v[108:109] neg_lo:[0,0,1] neg_hi:[0,0,1]
	v_pk_fma_f32 v[38:39], v[38:39], v[16:17], v[108:109] op_sel_hi:[0,1,1]
	v_pk_fma_f32 v[118:119], v[44:45], v[18:19], v[114:115] op_sel:[0,0,1] op_sel_hi:[1,1,0] neg_lo:[0,0,1] neg_hi:[0,0,1]
	v_pk_fma_f32 v[44:45], v[44:45], v[18:19], v[114:115] op_sel:[0,0,1] op_sel_hi:[0,1,0]
	v_pk_fma_f32 v[122:123], v[46:47], v[12:13], v[116:117] op_sel:[0,0,1] op_sel_hi:[1,1,0] neg_lo:[0,0,1] neg_hi:[0,0,1]
	v_pk_fma_f32 v[46:47], v[46:47], v[12:13], v[116:117] op_sel:[0,0,1] op_sel_hi:[0,1,0]
	v_pk_fma_f32 v[116:117], v[56:57], v[2:3], v[120:121] op_sel:[0,0,1] op_sel_hi:[1,1,0] neg_lo:[0,0,1] neg_hi:[0,0,1]
	v_pk_fma_f32 v[56:57], v[56:57], v[2:3], v[120:121] op_sel:[0,0,1] op_sel_hi:[0,1,0]
	v_pk_fma_f32 v[114:115], v[42:43], v[6:7], v[124:125] op_sel:[1,0,1] op_sel_hi:[1,1,0] neg_lo:[0,0,1] neg_hi:[0,0,1]
	v_pk_fma_f32 v[58:59], v[42:43], v[6:7], v[124:125] op_sel:[1,0,1] op_sel_hi:[1,1,0]
	v_pk_fma_f32 v[120:121], v[42:43], v[8:9], v[126:127] op_sel:[0,0,1] op_sel_hi:[1,1,0] neg_lo:[0,0,1] neg_hi:[0,0,1]
	v_pk_fma_f32 v[42:43], v[42:43], v[8:9], v[126:127] op_sel:[0,0,1] op_sel_hi:[0,1,0]
	v_pk_fma_f32 v[124:125], v[50:51], v[10:11], v[128:129] op_sel:[1,0,1] op_sel_hi:[1,1,0] neg_lo:[0,0,1] neg_hi:[0,0,1]
	v_pk_fma_f32 v[108:109], v[50:51], v[10:11], v[128:129] op_sel:[1,0,1] op_sel_hi:[1,1,0]
	v_pk_fma_f32 v[126:127], v[50:51], v[24:25], v[104:105] op_sel:[0,0,1] op_sel_hi:[1,1,0] neg_lo:[0,0,1] neg_hi:[0,0,1]
	v_pk_fma_f32 v[50:51], v[50:51], v[24:25], v[104:105] op_sel:[0,0,1] op_sel_hi:[0,1,0]
	v_pk_fma_f32 v[128:129], v[62:63], v[28:29], v[130:131] op_sel:[0,0,1] op_sel_hi:[1,1,0] neg_lo:[0,0,1] neg_hi:[0,0,1]
	v_pk_fma_f32 v[104:105], v[62:63], v[28:29], v[130:131] op_sel:[0,0,1] op_sel_hi:[0,1,0]
	v_mov_b32_e32 v141, v35
	v_mov_b32_e32 v133, v55
	v_pk_mul_f32 v[102:103], v[102:103], v[26:27] op_sel:[1,0]
	v_mov_b32_e32 v100, v15
	v_mov_b32_e32 v101, v14
	v_pk_mul_f32 v[40:41], v[40:41], v[4:5] op_sel_hi:[0,1]
	v_mov_b32_e32 v111, v37
	v_mov_b32_e32 v129, v105
	v_mov_b32_e32 v117, v57
	v_pk_add_f32 v[56:57], v[140:141], v[132:133] neg_lo:[0,1] neg_hi:[0,1]
	v_pk_mul_f32 v[60:61], v[60:61], v[0:1] op_sel:[0,1] op_sel_hi:[0,0]
	v_pk_fma_f32 v[130:131], v[62:63], v[26:27], v[102:103] op_sel:[1,0,1] op_sel_hi:[1,1,0] neg_lo:[0,0,1] neg_hi:[0,0,1]
	v_pk_fma_f32 v[62:63], v[62:63], v[26:27], v[102:103] op_sel:[1,0,1] op_sel_hi:[1,1,0]
	v_pk_mul_f32 v[102:103], v[52:53], v[100:101] op_sel:[1,0]
	v_pk_fma_f32 v[134:135], v[48:49], v[4:5], v[40:41] op_sel:[0,0,1] op_sel_hi:[1,1,0] neg_lo:[0,0,1] neg_hi:[0,0,1]
	v_pk_fma_f32 v[40:41], v[48:49], v[4:5], v[40:41] op_sel:[0,0,1] op_sel_hi:[0,1,0]
	v_mov_b32_e32 v113, v39
	v_mov_b32_e32 v115, v59
	v_pk_add_f32 v[36:37], v[140:141], v[132:133]
	v_pk_add_f32 v[58:59], v[110:111], v[128:129] neg_lo:[0,1] neg_hi:[0,1]
	v_pk_mul_f32 v[38:39], v[56:57], s[16:17] op_sel:[1,0] op_sel_hi:[0,0]
	v_pk_fma_f32 v[136:137], v[48:49], v[0:1], v[60:61] op_sel:[1,0,0] neg_lo:[0,0,1] neg_hi:[0,0,1]
	v_pk_fma_f32 v[60:61], v[48:49], v[0:1], v[60:61] op_sel:[1,0,0]
	v_pk_fma_f32 v[138:139], v[52:53], v[14:15], v[102:103] neg_lo:[0,0,1] neg_hi:[0,0,1]
	v_pk_fma_f32 v[48:49], v[52:53], v[14:15], v[102:103] op_sel_hi:[0,1,1]
	v_mov_b32_e32 v135, v41
	v_pk_add_f32 v[34:35], v[110:111], v[128:129]
	v_pk_fma_f32 v[52:53], v[36:37], s[2:3], v[38:39] op_sel_hi:[1,0,1]
	v_pk_fma_f32 v[142:143], v[36:37], s[2:3], v[38:39] op_sel_hi:[1,0,1] neg_lo:[0,0,1] neg_hi:[0,0,1]
	v_pk_mul_f32 v[40:41], v[58:59], s[14:15] op_sel:[1,0] op_sel_hi:[0,0]
	v_mov_b32_e32 v131, v63
	v_mov_b32_e32 v38, v52
	;; [unrolled: 1-line block ×3, first 2 shown]
	v_pk_fma_f32 v[144:145], v[34:35], s[10:11], v[40:41] op_sel_hi:[1,0,1]
	v_pk_fma_f32 v[146:147], v[34:35], s[10:11], v[40:41] op_sel_hi:[1,0,1] neg_lo:[0,0,1] neg_hi:[0,0,1]
	v_mov_b32_e32 v137, v61
	v_pk_add_f32 v[38:39], v[32:33], v[38:39]
	v_mov_b32_e32 v40, v144
	v_mov_b32_e32 v41, v147
	v_pk_add_f32 v[60:61], v[112:113], v[130:131] neg_lo:[0,1] neg_hi:[0,1]
	v_mov_b32_e32 v121, v43
	v_pk_add_f32 v[40:41], v[40:41], v[38:39]
	v_pk_add_f32 v[38:39], v[112:113], v[130:131]
	v_pk_mul_f32 v[42:43], v[60:61], s[40:41] op_sel:[1,0] op_sel_hi:[0,0]
	v_mov_b32_e32 v119, v45
	v_mov_b32_e32 v127, v51
	v_pk_fma_f32 v[148:149], v[38:39], s[18:19], v[42:43] op_sel_hi:[1,0,1]
	v_pk_fma_f32 v[150:151], v[38:39], s[18:19], v[42:43] op_sel_hi:[1,0,1] neg_lo:[0,0,1] neg_hi:[0,0,1]
	v_mov_b32_e32 v42, v148
	v_mov_b32_e32 v43, v151
	v_pk_add_f32 v[62:63], v[118:119], v[126:127] neg_lo:[0,1] neg_hi:[0,1]
	v_pk_add_f32 v[42:43], v[42:43], v[40:41]
	v_pk_add_f32 v[40:41], v[118:119], v[126:127]
	v_pk_mul_f32 v[44:45], v[62:63], s[26:27] op_sel:[1,0] op_sel_hi:[0,0]
	v_mov_b32_e32 v123, v47
	v_mov_b32_e32 v125, v109
	v_pk_fma_f32 v[152:153], v[40:41], s[22:23], v[44:45] op_sel_hi:[1,0,1]
	v_pk_fma_f32 v[154:155], v[40:41], s[22:23], v[44:45] op_sel_hi:[1,0,1] neg_lo:[0,0,1] neg_hi:[0,0,1]
	v_mov_b32_e32 v44, v152
	v_mov_b32_e32 v45, v155
	v_pk_add_f32 v[104:105], v[122:123], v[124:125] neg_lo:[0,1] neg_hi:[0,1]
	v_pk_add_f32 v[42:43], v[44:45], v[42:43]
	v_pk_add_f32 v[44:45], v[122:123], v[124:125]
	v_pk_mul_f32 v[46:47], v[104:105], s[50:51] op_sel:[1,0] op_sel_hi:[0,0]
	v_mov_b32_e32 v139, v49
	v_pk_fma_f32 v[156:157], v[44:45], s[20:21], v[46:47] op_sel_hi:[1,0,1]
	v_pk_fma_f32 v[158:159], v[44:45], s[20:21], v[46:47] op_sel_hi:[1,0,1] neg_lo:[0,0,1] neg_hi:[0,0,1]
	v_mov_b32_e32 v46, v156
	v_mov_b32_e32 v47, v159
	v_pk_add_f32 v[106:107], v[138:139], v[120:121] neg_lo:[0,1] neg_hi:[0,1]
	v_pk_add_f32 v[42:43], v[46:47], v[42:43]
	v_pk_add_f32 v[46:47], v[138:139], v[120:121]
	v_pk_mul_f32 v[48:49], v[106:107], s[34:35] op_sel:[1,0] op_sel_hi:[0,0]
	v_pk_fma_f32 v[160:161], v[46:47], s[28:29], v[48:49] op_sel_hi:[1,0,1]
	v_pk_fma_f32 v[162:163], v[46:47], s[28:29], v[48:49] op_sel_hi:[1,0,1] neg_lo:[0,0,1] neg_hi:[0,0,1]
	v_mov_b32_e32 v48, v160
	v_mov_b32_e32 v49, v163
	v_pk_add_f32 v[108:109], v[136:137], v[114:115] neg_lo:[0,1] neg_hi:[0,1]
	v_pk_add_f32 v[42:43], v[48:49], v[42:43]
	v_pk_add_f32 v[48:49], v[136:137], v[114:115]
	v_pk_mul_f32 v[50:51], v[108:109], s[42:43] op_sel:[1,0] op_sel_hi:[0,0]
	;; [unrolled: 8-line block ×3, first 2 shown]
	v_pk_fma_f32 v[168:169], v[50:51], s[36:37], v[54:55] op_sel_hi:[1,0,1]
	v_pk_fma_f32 v[170:171], v[50:51], s[36:37], v[54:55] op_sel_hi:[1,0,1] neg_lo:[0,0,1] neg_hi:[0,0,1]
	v_mov_b32_e32 v54, v168
	v_mov_b32_e32 v55, v171
	v_pk_add_f32 v[102:103], v[54:55], v[42:43]
	v_lshl_add_u64 v[42:43], s[8:9], 0, v[98:99]
	s_and_saveexec_b64 s[24:25], vcc
	s_cbranch_execz .LBB0_5
; %bb.4:
	v_pk_add_f32 v[140:141], v[32:33], v[140:141]
	v_mov_b32_e32 v54, v57
	v_pk_add_f32 v[110:111], v[140:141], v[110:111]
	v_mov_b32_e32 v55, v56
	;; [unrolled: 2-line block ×4, first 2 shown]
	v_pk_add_f32 v[110:111], v[110:111], v[122:123]
	s_mov_b32 s44, 0x3eb8f4ab
	v_pk_add_f32 v[110:111], v[110:111], v[138:139]
	v_mov_b32_e32 v58, v61
	v_pk_add_f32 v[110:111], v[110:111], v[136:137]
	v_mov_b32_e32 v59, v60
	v_pk_add_f32 v[110:111], v[110:111], v[116:117]
	v_pk_mul_f32 v[116:117], v[56:57], s[44:45] op_sel_hi:[1,0]
	v_pk_add_f32 v[110:111], v[110:111], v[134:135]
	v_pk_fma_f32 v[118:119], v[34:35], s[2:3], v[116:117] op_sel_hi:[1,0,1]
	v_pk_add_f32 v[110:111], v[110:111], v[114:115]
	v_pk_fma_f32 v[116:117], v[34:35], s[2:3], v[116:117] op_sel_hi:[1,0,1] neg_lo:[0,0,1] neg_hi:[0,0,1]
	v_pk_add_f32 v[110:111], v[110:111], v[120:121]
	v_mov_b32_e32 v120, v118
	v_pk_add_f32 v[110:111], v[110:111], v[124:125]
	v_mov_b32_e32 v121, v117
	;; [unrolled: 2-line block ×4, first 2 shown]
	v_pk_add_f32 v[110:111], v[110:111], v[128:129]
	s_mov_b32 s48, 0x3f2c7751
	v_pk_add_f32 v[110:111], v[110:111], v[132:133]
	ds_write_b64 v177, v[110:111]
	v_pk_mul_f32 v[110:111], v[54:55], s[38:39] op_sel_hi:[1,0]
	v_mov_b32_e32 v117, v119
	v_pk_fma_f32 v[112:113], v[36:37], s[36:37], v[110:111] op_sel_hi:[1,0,1]
	v_pk_fma_f32 v[110:111], v[36:37], s[36:37], v[110:111] op_sel_hi:[1,0,1] neg_lo:[0,0,1] neg_hi:[0,0,1]
	v_mov_b32_e32 v114, v112
	v_mov_b32_e32 v115, v111
	v_pk_add_f32 v[114:115], v[32:33], v[114:115]
	v_mov_b32_e32 v111, v113
	v_pk_add_f32 v[114:115], v[120:121], v[114:115]
	v_pk_mul_f32 v[120:121], v[58:59], s[42:43] op_sel_hi:[1,0]
	v_pk_add_f32 v[110:111], v[32:33], v[110:111]
	v_pk_fma_f32 v[122:123], v[38:39], s[30:31], v[120:121] op_sel_hi:[1,0,1]
	v_pk_fma_f32 v[120:121], v[38:39], s[30:31], v[120:121] op_sel_hi:[1,0,1] neg_lo:[0,0,1] neg_hi:[0,0,1]
	v_mov_b32_e32 v124, v122
	v_mov_b32_e32 v125, v121
	v_pk_add_f32 v[114:115], v[124:125], v[114:115]
	v_pk_mul_f32 v[124:125], v[60:61], s[48:49] op_sel_hi:[1,0]
	s_mov_b32 s46, 0x3f65296c
	v_pk_add_f32 v[110:111], v[116:117], v[110:111]
	v_mov_b32_e32 v121, v123
	v_pk_mul_f32 v[112:113], v[54:55], s[42:43] op_sel_hi:[1,0]
	v_pk_fma_f32 v[126:127], v[40:41], s[10:11], v[124:125] op_sel_hi:[1,0,1]
	v_pk_fma_f32 v[124:125], v[40:41], s[10:11], v[124:125] op_sel_hi:[1,0,1] neg_lo:[0,0,1] neg_hi:[0,0,1]
	v_pk_add_f32 v[110:111], v[120:121], v[110:111]
	v_pk_fma_f32 v[116:117], v[36:37], s[30:31], v[112:113] op_sel_hi:[1,0,1]
	v_pk_fma_f32 v[112:113], v[36:37], s[30:31], v[112:113] op_sel_hi:[1,0,1] neg_lo:[0,0,1] neg_hi:[0,0,1]
	v_pk_mul_f32 v[120:121], v[56:57], s[46:47] op_sel_hi:[1,0]
	v_mov_b32_e32 v62, v105
	v_mov_b32_e32 v63, v104
	;; [unrolled: 1-line block ×7, first 2 shown]
	v_pk_fma_f32 v[122:123], v[34:35], s[18:19], v[120:121] op_sel_hi:[1,0,1]
	v_pk_fma_f32 v[120:121], v[34:35], s[18:19], v[120:121] op_sel_hi:[1,0,1] neg_lo:[0,0,1] neg_hi:[0,0,1]
	v_pk_add_f32 v[114:115], v[128:129], v[114:115]
	v_pk_mul_f32 v[128:129], v[62:63], s[34:35] op_sel_hi:[1,0]
	v_pk_add_f32 v[110:111], v[124:125], v[110:111]
	v_pk_add_f32 v[118:119], v[32:33], v[118:119]
	v_mov_b32_e32 v124, v122
	v_mov_b32_e32 v125, v121
	v_pk_fma_f32 v[130:131], v[44:45], s[28:29], v[128:129] op_sel_hi:[1,0,1]
	v_pk_fma_f32 v[128:129], v[44:45], s[28:29], v[128:129] op_sel_hi:[1,0,1] neg_lo:[0,0,1] neg_hi:[0,0,1]
	v_pk_add_f32 v[118:119], v[124:125], v[118:119]
	v_pk_mul_f32 v[124:125], v[58:59], s[26:27] op_sel_hi:[1,0]
	v_mov_b32_e32 v104, v107
	v_mov_b32_e32 v105, v106
	;; [unrolled: 1-line block ×5, first 2 shown]
	v_pk_fma_f32 v[126:127], v[38:39], s[22:23], v[124:125] op_sel_hi:[1,0,1]
	v_pk_fma_f32 v[124:125], v[38:39], s[22:23], v[124:125] op_sel_hi:[1,0,1] neg_lo:[0,0,1] neg_hi:[0,0,1]
	v_pk_add_f32 v[114:115], v[132:133], v[114:115]
	v_pk_mul_f32 v[132:133], v[104:105], s[46:47] op_sel_hi:[1,0]
	v_pk_add_f32 v[110:111], v[128:129], v[110:111]
	v_mov_b32_e32 v128, v126
	v_mov_b32_e32 v129, v125
	s_mov_b32 s54, 0x3f4c4adb
	v_pk_fma_f32 v[134:135], v[46:47], s[18:19], v[132:133] op_sel_hi:[1,0,1]
	v_pk_fma_f32 v[132:133], v[46:47], s[18:19], v[132:133] op_sel_hi:[1,0,1] neg_lo:[0,0,1] neg_hi:[0,0,1]
	v_pk_add_f32 v[118:119], v[128:129], v[118:119]
	v_pk_mul_f32 v[128:129], v[60:61], s[54:55] op_sel_hi:[1,0]
	v_mov_b32_e32 v106, v109
	v_mov_b32_e32 v107, v108
	;; [unrolled: 1-line block ×5, first 2 shown]
	v_pk_fma_f32 v[130:131], v[40:41], s[28:29], v[128:129] op_sel_hi:[1,0,1]
	v_pk_fma_f32 v[128:129], v[40:41], s[28:29], v[128:129] op_sel_hi:[1,0,1] neg_lo:[0,0,1] neg_hi:[0,0,1]
	v_pk_add_f32 v[114:115], v[136:137], v[114:115]
	v_pk_mul_f32 v[136:137], v[106:107], s[50:51] op_sel_hi:[1,0]
	v_pk_add_f32 v[110:111], v[132:133], v[110:111]
	v_mov_b32_e32 v132, v130
	v_mov_b32_e32 v133, v129
	v_pk_fma_f32 v[138:139], v[48:49], s[20:21], v[136:137] op_sel_hi:[1,0,1]
	v_pk_fma_f32 v[136:137], v[48:49], s[20:21], v[136:137] op_sel_hi:[1,0,1] neg_lo:[0,0,1] neg_hi:[0,0,1]
	v_pk_add_f32 v[118:119], v[132:133], v[118:119]
	v_pk_mul_f32 v[132:133], v[62:63], s[16:17] op_sel_hi:[1,0]
	v_mov_b32_e32 v108, v173
	v_mov_b32_e32 v109, v172
	;; [unrolled: 1-line block ×4, first 2 shown]
	s_mov_b32 s56, 0x3f7ee86f
	v_mov_b32_e32 v137, v139
	v_pk_fma_f32 v[134:135], v[44:45], s[2:3], v[132:133] op_sel_hi:[1,0,1]
	v_pk_fma_f32 v[132:133], v[44:45], s[2:3], v[132:133] op_sel_hi:[1,0,1] neg_lo:[0,0,1] neg_hi:[0,0,1]
	v_mov_b32_e32 v143, v53
	v_pk_add_f32 v[114:115], v[140:141], v[114:115]
	v_pk_mul_f32 v[140:141], v[108:109], s[56:57] op_sel_hi:[1,0]
	v_pk_add_f32 v[110:111], v[136:137], v[110:111]
	v_mov_b32_e32 v136, v134
	v_mov_b32_e32 v137, v133
	v_pk_add_f32 v[52:53], v[32:33], v[142:143]
	v_pk_fma_f32 v[142:143], v[50:51], s[22:23], v[140:141] op_sel_hi:[1,0,1]
	v_pk_fma_f32 v[140:141], v[50:51], s[22:23], v[140:141] op_sel_hi:[1,0,1] neg_lo:[0,0,1] neg_hi:[0,0,1]
	v_pk_add_f32 v[118:119], v[136:137], v[118:119]
	v_pk_mul_f32 v[136:137], v[104:105], s[38:39] op_sel_hi:[1,0]
	v_mov_b32_e32 v147, v145
	v_mov_b32_e32 v145, v141
	;; [unrolled: 1-line block ×3, first 2 shown]
	v_pk_fma_f32 v[138:139], v[46:47], s[36:37], v[136:137] op_sel_hi:[1,0,1]
	v_pk_fma_f32 v[136:137], v[46:47], s[36:37], v[136:137] op_sel_hi:[1,0,1] neg_lo:[0,0,1] neg_hi:[0,0,1]
	v_mov_b32_e32 v113, v117
	v_pk_add_f32 v[110:111], v[140:141], v[110:111]
	v_mov_b32_e32 v140, v138
	v_mov_b32_e32 v141, v137
	v_pk_add_f32 v[112:113], v[32:33], v[112:113]
	v_mov_b32_e32 v121, v123
	v_pk_add_f32 v[118:119], v[140:141], v[118:119]
	v_pk_mul_f32 v[140:141], v[106:107], s[48:49] op_sel_hi:[1,0]
	v_pk_add_f32 v[112:113], v[120:121], v[112:113]
	v_mov_b32_e32 v125, v127
	v_mov_b32_e32 v144, v142
	v_pk_fma_f32 v[142:143], v[48:49], s[10:11], v[140:141] op_sel_hi:[1,0,1]
	v_pk_fma_f32 v[140:141], v[48:49], s[10:11], v[140:141] op_sel_hi:[1,0,1] neg_lo:[0,0,1] neg_hi:[0,0,1]
	v_pk_add_f32 v[112:113], v[124:125], v[112:113]
	v_mov_b32_e32 v129, v131
	v_pk_add_f32 v[114:115], v[144:145], v[114:115]
	v_mov_b32_e32 v144, v142
	v_mov_b32_e32 v145, v141
	v_pk_add_f32 v[112:113], v[128:129], v[112:113]
	v_mov_b32_e32 v133, v135
	v_pk_add_f32 v[118:119], v[144:145], v[118:119]
	v_pk_mul_f32 v[144:145], v[108:109], s[50:51] op_sel_hi:[1,0]
	v_pk_add_f32 v[112:113], v[132:133], v[112:113]
	v_mov_b32_e32 v137, v139
	v_pk_add_f32 v[52:53], v[146:147], v[52:53]
	v_pk_fma_f32 v[146:147], v[50:51], s[20:21], v[144:145] op_sel_hi:[1,0,1]
	v_pk_fma_f32 v[144:145], v[50:51], s[20:21], v[144:145] op_sel_hi:[1,0,1] neg_lo:[0,0,1] neg_hi:[0,0,1]
	v_pk_add_f32 v[112:113], v[136:137], v[112:113]
	v_mov_b32_e32 v141, v143
	v_mov_b32_e32 v151, v149
	v_mov_b32_e32 v149, v145
	v_pk_add_f32 v[112:113], v[140:141], v[112:113]
	v_mov_b32_e32 v145, v147
	v_lshl_add_u32 v99, v174, 3, v175
	v_mov_b32_e32 v148, v146
	v_pk_add_f32 v[112:113], v[144:145], v[112:113]
	v_pk_add_f32 v[118:119], v[148:149], v[118:119]
	ds_write2_b64 v99, v[112:113], v[110:111] offset0:112 offset1:128
	ds_write2_b64 v99, v[114:115], v[118:119] offset0:144 offset1:160
	v_pk_mul_f32 v[110:111], v[54:55], s[34:35] op_sel_hi:[1,0]
	s_mov_b32 s52, 0x3f763a35
	v_pk_fma_f32 v[112:113], v[36:37], s[28:29], v[110:111] op_sel_hi:[1,0,1]
	v_pk_fma_f32 v[110:111], v[36:37], s[28:29], v[110:111] op_sel_hi:[1,0,1] neg_lo:[0,0,1] neg_hi:[0,0,1]
	v_pk_mul_f32 v[116:117], v[56:57], s[52:53] op_sel_hi:[1,0]
	v_mov_b32_e32 v114, v112
	v_mov_b32_e32 v115, v111
	v_pk_fma_f32 v[118:119], v[34:35], s[20:21], v[116:117] op_sel_hi:[1,0,1]
	v_pk_fma_f32 v[116:117], v[34:35], s[20:21], v[116:117] op_sel_hi:[1,0,1] neg_lo:[0,0,1] neg_hi:[0,0,1]
	v_pk_add_f32 v[114:115], v[32:33], v[114:115]
	v_mov_b32_e32 v120, v118
	v_mov_b32_e32 v121, v117
	v_pk_add_f32 v[114:115], v[120:121], v[114:115]
	v_pk_mul_f32 v[120:121], v[58:59], s[16:17] op_sel_hi:[1,0]
	v_mov_b32_e32 v111, v113
	v_pk_fma_f32 v[122:123], v[38:39], s[2:3], v[120:121] op_sel_hi:[1,0,1]
	v_pk_fma_f32 v[120:121], v[38:39], s[2:3], v[120:121] op_sel_hi:[1,0,1] neg_lo:[0,0,1] neg_hi:[0,0,1]
	v_mov_b32_e32 v124, v122
	v_mov_b32_e32 v125, v121
	v_pk_add_f32 v[110:111], v[32:33], v[110:111]
	v_mov_b32_e32 v117, v119
	v_pk_add_f32 v[114:115], v[124:125], v[114:115]
	v_pk_mul_f32 v[124:125], v[60:61], s[42:43] op_sel_hi:[1,0]
	v_pk_add_f32 v[110:111], v[116:117], v[110:111]
	v_mov_b32_e32 v121, v123
	v_pk_mul_f32 v[112:113], v[54:55], s[50:51] op_sel_hi:[1,0]
	s_mov_b32 s50, 0x3f06c442
	v_pk_fma_f32 v[126:127], v[40:41], s[30:31], v[124:125] op_sel_hi:[1,0,1]
	v_pk_fma_f32 v[124:125], v[40:41], s[30:31], v[124:125] op_sel_hi:[1,0,1] neg_lo:[0,0,1] neg_hi:[0,0,1]
	v_pk_add_f32 v[110:111], v[120:121], v[110:111]
	v_pk_fma_f32 v[116:117], v[36:37], s[20:21], v[112:113] op_sel_hi:[1,0,1]
	v_pk_fma_f32 v[112:113], v[36:37], s[20:21], v[112:113] op_sel_hi:[1,0,1] neg_lo:[0,0,1] neg_hi:[0,0,1]
	v_pk_mul_f32 v[120:121], v[56:57], s[50:51] op_sel_hi:[1,0]
	v_mov_b32_e32 v128, v126
	v_mov_b32_e32 v129, v125
	;; [unrolled: 1-line block ×5, first 2 shown]
	v_pk_fma_f32 v[122:123], v[34:35], s[30:31], v[120:121] op_sel_hi:[1,0,1]
	v_pk_fma_f32 v[120:121], v[34:35], s[30:31], v[120:121] op_sel_hi:[1,0,1] neg_lo:[0,0,1] neg_hi:[0,0,1]
	v_pk_add_f32 v[114:115], v[128:129], v[114:115]
	v_pk_mul_f32 v[128:129], v[62:63], s[56:57] op_sel_hi:[1,0]
	v_pk_add_f32 v[110:111], v[124:125], v[110:111]
	v_pk_add_f32 v[118:119], v[32:33], v[118:119]
	v_mov_b32_e32 v124, v122
	v_mov_b32_e32 v125, v121
	v_pk_fma_f32 v[130:131], v[44:45], s[22:23], v[128:129] op_sel_hi:[1,0,1]
	v_pk_fma_f32 v[128:129], v[44:45], s[22:23], v[128:129] op_sel_hi:[1,0,1] neg_lo:[0,0,1] neg_hi:[0,0,1]
	v_pk_add_f32 v[118:119], v[124:125], v[118:119]
	v_pk_mul_f32 v[124:125], v[58:59], s[48:49] op_sel_hi:[1,0]
	v_mov_b32_e32 v132, v130
	v_mov_b32_e32 v133, v129
	v_mov_b32_e32 v129, v131
	v_pk_fma_f32 v[126:127], v[38:39], s[10:11], v[124:125] op_sel_hi:[1,0,1]
	v_pk_fma_f32 v[124:125], v[38:39], s[10:11], v[124:125] op_sel_hi:[1,0,1] neg_lo:[0,0,1] neg_hi:[0,0,1]
	v_pk_add_f32 v[114:115], v[132:133], v[114:115]
	v_pk_mul_f32 v[132:133], v[104:105], s[14:15] op_sel_hi:[1,0]
	v_pk_add_f32 v[110:111], v[128:129], v[110:111]
	v_mov_b32_e32 v128, v126
	v_mov_b32_e32 v129, v125
	v_pk_fma_f32 v[134:135], v[46:47], s[10:11], v[132:133] op_sel_hi:[1,0,1]
	v_pk_fma_f32 v[132:133], v[46:47], s[10:11], v[132:133] op_sel_hi:[1,0,1] neg_lo:[0,0,1] neg_hi:[0,0,1]
	v_pk_add_f32 v[118:119], v[128:129], v[118:119]
	v_pk_mul_f32 v[128:129], v[60:61], s[40:41] op_sel_hi:[1,0]
	v_mov_b32_e32 v136, v134
	v_mov_b32_e32 v137, v133
	v_mov_b32_e32 v133, v135
	v_pk_fma_f32 v[130:131], v[40:41], s[18:19], v[128:129] op_sel_hi:[1,0,1]
	v_pk_fma_f32 v[128:129], v[40:41], s[18:19], v[128:129] op_sel_hi:[1,0,1] neg_lo:[0,0,1] neg_hi:[0,0,1]
	v_pk_add_f32 v[114:115], v[136:137], v[114:115]
	v_pk_mul_f32 v[136:137], v[106:107], s[38:39] op_sel_hi:[1,0]
	;; [unrolled: 14-line block ×3, first 2 shown]
	v_pk_add_f32 v[110:111], v[136:137], v[110:111]
	v_mov_b32_e32 v136, v134
	v_mov_b32_e32 v137, v133
	v_pk_fma_f32 v[142:143], v[50:51], s[18:19], v[140:141] op_sel_hi:[1,0,1]
	v_pk_fma_f32 v[140:141], v[50:51], s[18:19], v[140:141] op_sel_hi:[1,0,1] neg_lo:[0,0,1] neg_hi:[0,0,1]
	v_pk_add_f32 v[118:119], v[136:137], v[118:119]
	v_pk_mul_f32 v[136:137], v[104:105], s[56:57] op_sel_hi:[1,0]
	v_mov_b32_e32 v145, v141
	v_mov_b32_e32 v141, v143
	v_pk_fma_f32 v[138:139], v[46:47], s[22:23], v[136:137] op_sel_hi:[1,0,1]
	v_pk_fma_f32 v[136:137], v[46:47], s[22:23], v[136:137] op_sel_hi:[1,0,1] neg_lo:[0,0,1] neg_hi:[0,0,1]
	v_mov_b32_e32 v113, v117
	v_pk_add_f32 v[110:111], v[140:141], v[110:111]
	v_mov_b32_e32 v140, v138
	v_mov_b32_e32 v141, v137
	v_pk_add_f32 v[112:113], v[32:33], v[112:113]
	v_mov_b32_e32 v121, v123
	v_pk_add_f32 v[118:119], v[140:141], v[118:119]
	v_pk_mul_f32 v[140:141], v[106:107], s[16:17] op_sel_hi:[1,0]
	v_pk_add_f32 v[112:113], v[120:121], v[112:113]
	v_mov_b32_e32 v125, v127
	v_mov_b32_e32 v144, v142
	v_pk_fma_f32 v[142:143], v[48:49], s[2:3], v[140:141] op_sel_hi:[1,0,1]
	v_pk_fma_f32 v[140:141], v[48:49], s[2:3], v[140:141] op_sel_hi:[1,0,1] neg_lo:[0,0,1] neg_hi:[0,0,1]
	v_pk_add_f32 v[112:113], v[124:125], v[112:113]
	v_mov_b32_e32 v129, v131
	v_pk_add_f32 v[114:115], v[144:145], v[114:115]
	v_mov_b32_e32 v144, v142
	v_mov_b32_e32 v145, v141
	v_pk_add_f32 v[112:113], v[128:129], v[112:113]
	v_mov_b32_e32 v133, v135
	v_pk_add_f32 v[118:119], v[144:145], v[118:119]
	v_pk_mul_f32 v[144:145], v[108:109], s[34:35] op_sel_hi:[1,0]
	v_pk_add_f32 v[112:113], v[132:133], v[112:113]
	v_mov_b32_e32 v137, v139
	v_pk_fma_f32 v[146:147], v[50:51], s[28:29], v[144:145] op_sel_hi:[1,0,1]
	v_pk_fma_f32 v[144:145], v[50:51], s[28:29], v[144:145] op_sel_hi:[1,0,1] neg_lo:[0,0,1] neg_hi:[0,0,1]
	v_pk_add_f32 v[112:113], v[136:137], v[112:113]
	v_mov_b32_e32 v141, v143
	v_mov_b32_e32 v149, v145
	v_pk_add_f32 v[112:113], v[140:141], v[112:113]
	v_mov_b32_e32 v145, v147
	v_mov_b32_e32 v148, v146
	v_pk_add_f32 v[112:113], v[144:145], v[112:113]
	v_pk_add_f32 v[118:119], v[148:149], v[118:119]
	ds_write2_b64 v99, v[112:113], v[110:111] offset0:80 offset1:96
	ds_write2_b64 v99, v[114:115], v[118:119] offset0:176 offset1:192
	v_pk_mul_f32 v[110:111], v[54:55], s[26:27] op_sel_hi:[1,0]
	v_pk_mul_f32 v[116:117], v[56:57], s[38:39] op_sel_hi:[1,0]
	v_pk_fma_f32 v[112:113], v[36:37], s[22:23], v[110:111] op_sel_hi:[1,0,1]
	v_pk_fma_f32 v[110:111], v[36:37], s[22:23], v[110:111] op_sel_hi:[1,0,1] neg_lo:[0,0,1] neg_hi:[0,0,1]
	v_mov_b32_e32 v114, v112
	v_mov_b32_e32 v115, v111
	v_pk_fma_f32 v[118:119], v[34:35], s[36:37], v[116:117] op_sel_hi:[1,0,1]
	v_pk_fma_f32 v[116:117], v[34:35], s[36:37], v[116:117] op_sel_hi:[1,0,1] neg_lo:[0,0,1] neg_hi:[0,0,1]
	v_pk_add_f32 v[114:115], v[32:33], v[114:115]
	v_mov_b32_e32 v120, v118
	v_mov_b32_e32 v121, v117
	v_pk_add_f32 v[114:115], v[120:121], v[114:115]
	v_pk_mul_f32 v[120:121], v[58:59], s[52:53] op_sel_hi:[1,0]
	v_mov_b32_e32 v111, v113
	v_pk_fma_f32 v[122:123], v[38:39], s[20:21], v[120:121] op_sel_hi:[1,0,1]
	v_pk_fma_f32 v[120:121], v[38:39], s[20:21], v[120:121] op_sel_hi:[1,0,1] neg_lo:[0,0,1] neg_hi:[0,0,1]
	v_mov_b32_e32 v124, v122
	v_mov_b32_e32 v125, v121
	v_pk_add_f32 v[110:111], v[32:33], v[110:111]
	v_mov_b32_e32 v117, v119
	v_pk_add_f32 v[114:115], v[124:125], v[114:115]
	v_pk_mul_f32 v[124:125], v[60:61], s[44:45] op_sel_hi:[1,0]
	v_pk_add_f32 v[110:111], v[116:117], v[110:111]
	v_mov_b32_e32 v121, v123
	v_pk_mul_f32 v[112:113], v[54:55], s[40:41] op_sel_hi:[1,0]
	v_pk_fma_f32 v[126:127], v[40:41], s[2:3], v[124:125] op_sel_hi:[1,0,1]
	v_pk_fma_f32 v[124:125], v[40:41], s[2:3], v[124:125] op_sel_hi:[1,0,1] neg_lo:[0,0,1] neg_hi:[0,0,1]
	v_pk_add_f32 v[110:111], v[120:121], v[110:111]
	v_pk_fma_f32 v[116:117], v[36:37], s[18:19], v[112:113] op_sel_hi:[1,0,1]
	v_pk_fma_f32 v[112:113], v[36:37], s[18:19], v[112:113] op_sel_hi:[1,0,1] neg_lo:[0,0,1] neg_hi:[0,0,1]
	v_pk_mul_f32 v[120:121], v[56:57], s[34:35] op_sel_hi:[1,0]
	v_mov_b32_e32 v128, v126
	v_mov_b32_e32 v129, v125
	v_mov_b32_e32 v125, v127
	v_mov_b32_e32 v118, v116
	v_mov_b32_e32 v119, v113
	v_pk_fma_f32 v[122:123], v[34:35], s[28:29], v[120:121] op_sel_hi:[1,0,1]
	v_pk_fma_f32 v[120:121], v[34:35], s[28:29], v[120:121] op_sel_hi:[1,0,1] neg_lo:[0,0,1] neg_hi:[0,0,1]
	v_pk_add_f32 v[114:115], v[128:129], v[114:115]
	v_pk_mul_f32 v[128:129], v[62:63], s[40:41] op_sel_hi:[1,0]
	v_pk_add_f32 v[110:111], v[124:125], v[110:111]
	v_pk_add_f32 v[118:119], v[32:33], v[118:119]
	v_mov_b32_e32 v124, v122
	v_mov_b32_e32 v125, v121
	s_mov_b32 s40, 0x3e3c28d5
	v_pk_fma_f32 v[130:131], v[44:45], s[18:19], v[128:129] op_sel_hi:[1,0,1]
	v_pk_fma_f32 v[128:129], v[44:45], s[18:19], v[128:129] op_sel_hi:[1,0,1] neg_lo:[0,0,1] neg_hi:[0,0,1]
	v_pk_add_f32 v[118:119], v[124:125], v[118:119]
	v_pk_mul_f32 v[124:125], v[58:59], s[40:41] op_sel_hi:[1,0]
	v_mov_b32_e32 v132, v130
	v_mov_b32_e32 v133, v129
	v_mov_b32_e32 v129, v131
	v_pk_fma_f32 v[126:127], v[38:39], s[36:37], v[124:125] op_sel_hi:[1,0,1]
	v_pk_fma_f32 v[124:125], v[38:39], s[36:37], v[124:125] op_sel_hi:[1,0,1] neg_lo:[0,0,1] neg_hi:[0,0,1]
	v_pk_add_f32 v[114:115], v[132:133], v[114:115]
	v_pk_mul_f32 v[132:133], v[104:105], s[42:43] op_sel_hi:[1,0]
	v_pk_add_f32 v[110:111], v[128:129], v[110:111]
	v_mov_b32_e32 v128, v126
	v_mov_b32_e32 v129, v125
	v_pk_fma_f32 v[134:135], v[46:47], s[30:31], v[132:133] op_sel_hi:[1,0,1]
	v_pk_fma_f32 v[132:133], v[46:47], s[30:31], v[132:133] op_sel_hi:[1,0,1] neg_lo:[0,0,1] neg_hi:[0,0,1]
	v_pk_add_f32 v[118:119], v[128:129], v[118:119]
	v_pk_mul_f32 v[128:129], v[60:61], s[52:53] op_sel_hi:[1,0]
	v_mov_b32_e32 v136, v134
	v_mov_b32_e32 v137, v133
	v_mov_b32_e32 v133, v135
	v_pk_fma_f32 v[130:131], v[40:41], s[20:21], v[128:129] op_sel_hi:[1,0,1]
	v_pk_fma_f32 v[128:129], v[40:41], s[20:21], v[128:129] op_sel_hi:[1,0,1] neg_lo:[0,0,1] neg_hi:[0,0,1]
	v_pk_add_f32 v[114:115], v[136:137], v[114:115]
	v_pk_mul_f32 v[136:137], v[106:107], s[54:55] op_sel_hi:[1,0]
	v_pk_add_f32 v[110:111], v[132:133], v[110:111]
	v_mov_b32_e32 v132, v130
	v_mov_b32_e32 v133, v129
	;; [unrolled: 14-line block ×3, first 2 shown]
	v_pk_fma_f32 v[142:143], v[50:51], s[10:11], v[140:141] op_sel_hi:[1,0,1]
	v_pk_fma_f32 v[140:141], v[50:51], s[10:11], v[140:141] op_sel_hi:[1,0,1] neg_lo:[0,0,1] neg_hi:[0,0,1]
	v_pk_add_f32 v[118:119], v[136:137], v[118:119]
	v_pk_mul_f32 v[136:137], v[104:105], s[16:17] op_sel_hi:[1,0]
	v_mov_b32_e32 v145, v141
	v_mov_b32_e32 v141, v143
	v_pk_fma_f32 v[138:139], v[46:47], s[2:3], v[136:137] op_sel_hi:[1,0,1]
	v_pk_fma_f32 v[136:137], v[46:47], s[2:3], v[136:137] op_sel_hi:[1,0,1] neg_lo:[0,0,1] neg_hi:[0,0,1]
	v_mov_b32_e32 v113, v117
	v_pk_add_f32 v[110:111], v[140:141], v[110:111]
	v_mov_b32_e32 v140, v138
	v_mov_b32_e32 v141, v137
	v_pk_add_f32 v[112:113], v[32:33], v[112:113]
	v_mov_b32_e32 v121, v123
	v_pk_add_f32 v[118:119], v[140:141], v[118:119]
	v_pk_mul_f32 v[140:141], v[106:107], s[26:27] op_sel_hi:[1,0]
	v_pk_add_f32 v[112:113], v[120:121], v[112:113]
	v_mov_b32_e32 v125, v127
	v_mov_b32_e32 v144, v142
	v_pk_fma_f32 v[142:143], v[48:49], s[22:23], v[140:141] op_sel_hi:[1,0,1]
	v_pk_fma_f32 v[140:141], v[48:49], s[22:23], v[140:141] op_sel_hi:[1,0,1] neg_lo:[0,0,1] neg_hi:[0,0,1]
	v_pk_add_f32 v[112:113], v[124:125], v[112:113]
	v_mov_b32_e32 v129, v131
	v_pk_add_f32 v[114:115], v[144:145], v[114:115]
	v_mov_b32_e32 v144, v142
	v_mov_b32_e32 v145, v141
	v_pk_add_f32 v[112:113], v[128:129], v[112:113]
	v_mov_b32_e32 v133, v135
	v_pk_add_f32 v[118:119], v[144:145], v[118:119]
	v_pk_mul_f32 v[144:145], v[108:109], s[42:43] op_sel_hi:[1,0]
	v_pk_add_f32 v[112:113], v[132:133], v[112:113]
	v_mov_b32_e32 v137, v139
	v_pk_fma_f32 v[146:147], v[50:51], s[30:31], v[144:145] op_sel_hi:[1,0,1]
	v_pk_fma_f32 v[144:145], v[50:51], s[30:31], v[144:145] op_sel_hi:[1,0,1] neg_lo:[0,0,1] neg_hi:[0,0,1]
	v_pk_add_f32 v[112:113], v[136:137], v[112:113]
	v_mov_b32_e32 v141, v143
	v_mov_b32_e32 v149, v145
	v_pk_add_f32 v[112:113], v[140:141], v[112:113]
	v_mov_b32_e32 v145, v147
	v_mov_b32_e32 v148, v146
	v_pk_add_f32 v[112:113], v[144:145], v[112:113]
	v_pk_mul_f32 v[54:55], v[54:55], s[14:15] op_sel_hi:[1,0]
	v_pk_add_f32 v[118:119], v[148:149], v[118:119]
	ds_write2_b64 v99, v[112:113], v[110:111] offset0:48 offset1:64
	ds_write2_b64 v99, v[114:115], v[118:119] offset0:208 offset1:224
	v_pk_mul_f32 v[56:57], v[56:57], s[26:27] op_sel_hi:[1,0]
	v_pk_fma_f32 v[110:111], v[36:37], s[10:11], v[54:55] op_sel_hi:[1,0,1]
	v_pk_fma_f32 v[36:37], v[36:37], s[10:11], v[54:55] op_sel_hi:[1,0,1] neg_lo:[0,0,1] neg_hi:[0,0,1]
	v_mov_b32_e32 v54, v110
	v_mov_b32_e32 v55, v37
	v_pk_fma_f32 v[112:113], v[34:35], s[22:23], v[56:57] op_sel_hi:[1,0,1]
	v_pk_fma_f32 v[34:35], v[34:35], s[22:23], v[56:57] op_sel_hi:[1,0,1] neg_lo:[0,0,1] neg_hi:[0,0,1]
	v_pk_mul_f32 v[58:59], v[58:59], s[34:35] op_sel_hi:[1,0]
	v_pk_add_f32 v[54:55], v[32:33], v[54:55]
	v_mov_b32_e32 v56, v112
	v_mov_b32_e32 v57, v35
	v_pk_add_f32 v[54:55], v[56:57], v[54:55]
	v_pk_fma_f32 v[56:57], v[38:39], s[28:29], v[58:59] op_sel_hi:[1,0,1]
	v_pk_fma_f32 v[38:39], v[38:39], s[28:29], v[58:59] op_sel_hi:[1,0,1] neg_lo:[0,0,1] neg_hi:[0,0,1]
	v_pk_mul_f32 v[60:61], v[60:61], s[38:39] op_sel_hi:[1,0]
	v_mov_b32_e32 v58, v56
	v_mov_b32_e32 v59, v39
	v_pk_add_f32 v[54:55], v[58:59], v[54:55]
	v_pk_fma_f32 v[58:59], v[40:41], s[36:37], v[60:61] op_sel_hi:[1,0,1]
	v_pk_fma_f32 v[40:41], v[40:41], s[36:37], v[60:61] op_sel_hi:[1,0,1] neg_lo:[0,0,1] neg_hi:[0,0,1]
	v_pk_mul_f32 v[62:63], v[62:63], s[50:51] op_sel_hi:[1,0]
	v_mov_b32_e32 v60, v58
	v_mov_b32_e32 v61, v41
	v_pk_add_f32 v[54:55], v[60:61], v[54:55]
	v_pk_fma_f32 v[60:61], v[44:45], s[30:31], v[62:63] op_sel_hi:[1,0,1]
	v_pk_fma_f32 v[44:45], v[44:45], s[30:31], v[62:63] op_sel_hi:[1,0,1] neg_lo:[0,0,1] neg_hi:[0,0,1]
	v_mov_b32_e32 v37, v111
	v_pk_mul_f32 v[104:105], v[104:105], s[52:53] op_sel_hi:[1,0]
	v_mov_b32_e32 v62, v60
	v_mov_b32_e32 v63, v45
	v_pk_add_f32 v[32:33], v[32:33], v[36:37]
	v_mov_b32_e32 v35, v113
	v_pk_add_f32 v[54:55], v[62:63], v[54:55]
	v_pk_fma_f32 v[62:63], v[46:47], s[20:21], v[104:105] op_sel_hi:[1,0,1]
	v_pk_fma_f32 v[46:47], v[46:47], s[20:21], v[104:105] op_sel_hi:[1,0,1] neg_lo:[0,0,1] neg_hi:[0,0,1]
	v_pk_add_f32 v[32:33], v[34:35], v[32:33]
	v_mov_b32_e32 v39, v57
	v_pk_add_f32 v[52:53], v[150:151], v[52:53]
	v_mov_b32_e32 v155, v153
	v_pk_mul_f32 v[106:107], v[106:107], s[46:47] op_sel_hi:[1,0]
	v_mov_b32_e32 v104, v62
	v_mov_b32_e32 v105, v47
	v_pk_add_f32 v[32:33], v[38:39], v[32:33]
	v_mov_b32_e32 v41, v59
	v_pk_add_f32 v[52:53], v[154:155], v[52:53]
	;; [unrolled: 2-line block ×3, first 2 shown]
	v_pk_fma_f32 v[104:105], v[48:49], s[18:19], v[106:107] op_sel_hi:[1,0,1]
	v_pk_fma_f32 v[48:49], v[48:49], s[18:19], v[106:107] op_sel_hi:[1,0,1] neg_lo:[0,0,1] neg_hi:[0,0,1]
	v_pk_add_f32 v[32:33], v[40:41], v[32:33]
	v_mov_b32_e32 v45, v61
	v_pk_add_f32 v[52:53], v[158:159], v[52:53]
	v_mov_b32_e32 v163, v161
	v_pk_mul_f32 v[108:109], v[108:109], s[44:45] op_sel_hi:[1,0]
	v_mov_b32_e32 v106, v104
	v_mov_b32_e32 v107, v49
	v_pk_add_f32 v[32:33], v[44:45], v[32:33]
	v_mov_b32_e32 v47, v63
	v_pk_add_f32 v[52:53], v[162:163], v[52:53]
	;; [unrolled: 2-line block ×3, first 2 shown]
	v_pk_fma_f32 v[106:107], v[50:51], s[2:3], v[108:109] op_sel_hi:[1,0,1]
	v_pk_fma_f32 v[50:51], v[50:51], s[2:3], v[108:109] op_sel_hi:[1,0,1] neg_lo:[0,0,1] neg_hi:[0,0,1]
	v_pk_add_f32 v[32:33], v[46:47], v[32:33]
	v_mov_b32_e32 v49, v105
	v_pk_add_f32 v[52:53], v[166:167], v[52:53]
	v_mov_b32_e32 v171, v169
	v_mov_b32_e32 v109, v51
	v_pk_add_f32 v[32:33], v[48:49], v[32:33]
	v_mov_b32_e32 v51, v107
	v_pk_add_f32 v[52:53], v[170:171], v[52:53]
	;; [unrolled: 2-line block ×3, first 2 shown]
	v_pk_add_f32 v[54:55], v[108:109], v[54:55]
	ds_write2_b64 v99, v[52:53], v[32:33] offset0:16 offset1:32
	v_add_u32_e32 v32, 0x400, v99
	ds_write2_b64 v32, v[54:55], v[102:103] offset0:112 offset1:128
.LBB0_5:
	s_or_b64 exec, exec, s[24:25]
	s_waitcnt lgkmcnt(0)
	s_barrier
	global_load_dwordx2 v[36:37], v[42:43], off offset:2176
	s_add_u32 s2, s8, 0x880
	s_addc_u32 s3, s9, 0
	global_load_dwordx2 v[38:39], v98, s[2:3] offset:136
	global_load_dwordx2 v[60:61], v98, s[2:3] offset:272
	;; [unrolled: 1-line block ×15, first 2 shown]
	ds_read2_b64 v[32:35], v83 offset1:17
	s_mov_b32 s2, 0x3f3504f3
	s_mov_b32 s10, 0x3f6c835e
	;; [unrolled: 1-line block ×4, first 2 shown]
	s_waitcnt vmcnt(15) lgkmcnt(0)
	v_mul_f32_e32 v40, v33, v37
	v_mul_f32_e32 v41, v32, v37
	v_fma_f32 v40, v32, v36, -v40
	v_fmac_f32_e32 v41, v33, v36
	s_waitcnt vmcnt(14)
	v_mul_f32_e32 v32, v35, v39
	v_mul_f32_e32 v33, v34, v39
	v_fma_f32 v32, v34, v38, -v32
	v_fmac_f32_e32 v33, v35, v38
	ds_write2_b64 v83, v[40:41], v[32:33] offset1:17
	ds_read2_b64 v[32:35], v83 offset0:34 offset1:51
	ds_read2_b64 v[36:39], v83 offset0:68 offset1:85
	;; [unrolled: 1-line block ×7, first 2 shown]
	s_waitcnt vmcnt(13) lgkmcnt(6)
	v_mul_f32_e32 v98, v33, v61
	v_mul_f32_e32 v99, v32, v61
	s_waitcnt vmcnt(12)
	v_mul_f32_e32 v128, v35, v63
	v_mul_f32_e32 v61, v34, v63
	s_waitcnt vmcnt(11) lgkmcnt(5)
	v_mul_f32_e32 v129, v37, v105
	v_mul_f32_e32 v63, v36, v105
	s_waitcnt vmcnt(10)
	v_mul_f32_e32 v130, v39, v107
	v_mul_f32_e32 v105, v38, v107
	;; [unrolled: 6-line block ×6, first 2 shown]
	s_waitcnt vmcnt(1) lgkmcnt(0)
	v_mul_f32_e32 v123, v57, v125
	v_fma_f32 v98, v32, v60, -v98
	v_fmac_f32_e32 v99, v33, v60
	v_fma_f32 v60, v34, v62, -v128
	v_fmac_f32_e32 v61, v35, v62
	v_mul_f32_e32 v33, v56, v125
	s_waitcnt vmcnt(0)
	v_mul_f32_e32 v34, v59, v127
	v_mul_f32_e32 v35, v58, v127
	v_fma_f32 v62, v36, v104, -v129
	v_fmac_f32_e32 v63, v37, v104
	v_fma_f32 v32, v56, v124, -v123
	v_fmac_f32_e32 v33, v57, v124
	;; [unrolled: 2-line block ×12, first 2 shown]
	ds_write2_b64 v83, v[98:99], v[60:61] offset0:34 offset1:51
	ds_write2_b64 v83, v[62:63], v[104:105] offset0:68 offset1:85
	;; [unrolled: 1-line block ×7, first 2 shown]
	s_waitcnt lgkmcnt(0)
	s_barrier
	ds_read2_b64 v[32:35], v83 offset1:17
	ds_read2_b64 v[36:39], v83 offset0:34 offset1:51
	ds_read2_b64 v[40:43], v83 offset0:68 offset1:85
	;; [unrolled: 1-line block ×7, first 2 shown]
	s_waitcnt lgkmcnt(0)
	v_pk_add_f32 v[48:49], v[32:33], v[48:49] neg_lo:[0,1] neg_hi:[0,1]
	v_pk_add_f32 v[52:53], v[40:41], v[52:53] neg_lo:[0,1] neg_hi:[0,1]
	;; [unrolled: 1-line block ×8, first 2 shown]
	v_pk_add_f32 v[98:99], v[48:49], v[52:53] op_sel:[0,1] op_sel_hi:[1,0] neg_lo:[0,1] neg_hi:[0,1]
	v_pk_add_f32 v[104:105], v[48:49], v[52:53] op_sel:[0,1] op_sel_hi:[1,0]
	v_pk_add_f32 v[106:107], v[56:57], v[60:61] op_sel:[0,1] op_sel_hi:[1,0] neg_lo:[0,1] neg_hi:[0,1]
	v_pk_add_f32 v[108:109], v[56:57], v[60:61] op_sel:[0,1] op_sel_hi:[1,0]
	v_mov_b32_e32 v105, v99
	v_mov_b32_e32 v109, v107
	v_fma_f32 v116, v57, 2.0, -v107
	v_pk_add_f32 v[106:107], v[50:51], v[54:55] op_sel:[0,1] op_sel_hi:[1,0] neg_lo:[0,1] neg_hi:[0,1]
	v_pk_add_f32 v[110:111], v[50:51], v[54:55] op_sel:[0,1] op_sel_hi:[1,0]
	v_pk_add_f32 v[112:113], v[58:59], v[62:63] op_sel:[0,1] op_sel_hi:[1,0] neg_lo:[0,1] neg_hi:[0,1]
	v_pk_add_f32 v[114:115], v[58:59], v[62:63] op_sel:[0,1] op_sel_hi:[1,0]
	v_fma_f32 v98, v56, 2.0, -v108
	v_mov_b32_e32 v111, v107
	v_mov_b32_e32 v115, v113
	v_pk_mul_f32 v[112:113], v[108:109], s[2:3] op_sel_hi:[1,0]
	v_pk_fma_f32 v[108:109], v[108:109], s[2:3], v[104:105] op_sel_hi:[1,0,1]
	v_pk_fma_f32 v[32:33], v[32:33], 2.0, v[48:49] op_sel_hi:[1,0,1] neg_lo:[0,0,1] neg_hi:[0,0,1]
	v_pk_fma_f32 v[40:41], v[40:41], 2.0, v[52:53] op_sel_hi:[1,0,1] neg_lo:[0,0,1] neg_hi:[0,0,1]
	;; [unrolled: 1-line block ×8, first 2 shown]
	v_mul_f32_e32 v106, 0x3f3504f3, v116
	v_pk_add_f32 v[116:117], v[108:109], v[112:113] op_sel:[0,1] op_sel_hi:[1,0] neg_lo:[0,1] neg_hi:[0,1]
	v_pk_add_f32 v[112:113], v[108:109], v[112:113] op_sel:[0,1] op_sel_hi:[1,0]
	v_pk_mul_f32 v[108:109], v[114:115], s[2:3] op_sel_hi:[1,0]
	v_pk_fma_f32 v[118:119], v[114:115], s[2:3], v[110:111] op_sel_hi:[1,0,1]
	v_pk_fma_f32 v[124:125], v[50:51], 2.0, v[110:111] op_sel_hi:[1,0,1] neg_lo:[0,0,1] neg_hi:[0,0,1]
	v_pk_fma_f32 v[114:115], v[58:59], 2.0, v[114:115] op_sel_hi:[1,0,1] neg_lo:[0,0,1] neg_hi:[0,0,1]
	v_pk_add_f32 v[40:41], v[32:33], v[40:41] neg_lo:[0,1] neg_hi:[0,1]
	v_pk_add_f32 v[44:45], v[36:37], v[44:45] neg_lo:[0,1] neg_hi:[0,1]
	;; [unrolled: 1-line block ×4, first 2 shown]
	v_pk_fma_f32 v[122:123], v[48:49], 2.0, v[104:105] op_sel_hi:[1,0,1] neg_lo:[0,0,1] neg_hi:[0,0,1]
	v_pk_mul_f32 v[126:127], v[114:115], s[2:3] op_sel_hi:[1,0]
	v_pk_fma_f32 v[114:115], v[114:115], s[2:3], v[124:125] op_sel_hi:[1,0,1] neg_lo:[1,0,0] neg_hi:[1,0,0]
	v_add_f32_e32 v49, v32, v32
	v_fma_f32 v32, v34, 2.0, -v42
	v_fma_f32 v34, v38, 2.0, -v46
	;; [unrolled: 1-line block ×3, first 2 shown]
	v_pk_add_f32 v[38:39], v[40:41], v[44:45] op_sel:[0,1] op_sel_hi:[1,0] neg_lo:[0,1] neg_hi:[0,1]
	v_pk_add_f32 v[120:121], v[118:119], v[108:109] op_sel:[0,1] op_sel_hi:[1,0] neg_lo:[0,1] neg_hi:[0,1]
	v_pk_add_f32 v[108:109], v[118:119], v[108:109] op_sel:[0,1] op_sel_hi:[1,0]
	v_pk_add_f32 v[128:129], v[114:115], v[126:127] op_sel:[0,1] op_sel_hi:[1,0] neg_lo:[0,1] neg_hi:[0,1]
	v_pk_add_f32 v[114:115], v[114:115], v[126:127] op_sel:[0,1] op_sel_hi:[1,0]
	v_fma_f32 v53, v36, 2.0, -v44
	v_fma_f32 v37, v37, 2.0, -v45
	v_pk_add_f32 v[54:55], v[40:41], v[44:45] op_sel:[0,1] op_sel_hi:[1,0]
	v_pk_add_f32 v[44:45], v[42:43], v[46:47] op_sel:[0,1] op_sel_hi:[1,0] neg_lo:[0,1] neg_hi:[0,1]
	v_pk_add_f32 v[58:59], v[42:43], v[46:47] op_sel:[0,1] op_sel_hi:[1,0]
	v_mov_b32_e32 v46, v99
	v_mov_b32_e32 v47, v41
	;; [unrolled: 1-line block ×5, first 2 shown]
	v_pk_fma_f32 v[46:47], v[46:47], 2.0, v[38:39] op_sel_hi:[1,0,1] neg_lo:[0,0,1] neg_hi:[0,0,1]
	v_mov_b32_e32 v111, v42
	v_mov_b32_e32 v38, v108
	v_mov_b32_e32 v39, v58
	v_pk_fma_f32 v[124:125], v[124:125], 2.0, v[114:115] op_sel_hi:[1,0,1] neg_lo:[0,0,1] neg_hi:[0,0,1]
	v_mov_b32_e32 v42, v107
	v_pk_fma_f32 v[60:61], v[110:111], 2.0, v[38:39] op_sel_hi:[1,0,1] neg_lo:[0,0,1] neg_hi:[0,0,1]
	v_mov_b32_e32 v44, v121
	v_pk_mul_f32 v[126:127], v[124:125], s[8:9] op_sel_hi:[1,0]
	v_sub_f32_e32 v115, v32, v34
	v_mov_b32_e32 v105, v40
	v_mov_b32_e32 v50, v112
	;; [unrolled: 1-line block ×3, first 2 shown]
	v_pk_fma_f32 v[38:39], v[42:43], 2.0, v[44:45] op_sel_hi:[1,0,1] neg_lo:[0,0,1] neg_hi:[0,0,1]
	s_mov_b32 s9, s2
	v_pk_mul_f32 v[62:63], v[60:61], s[10:11]
	v_mul_f32_e32 v98, 0x3f3504f3, v98
	v_add_f32_e32 v33, v33, v33
	v_fma_f32 v35, v35, 2.0, -v43
	v_fma_f32 v56, v32, 2.0, -v115
	v_mov_b32_e32 v59, v45
	v_pk_fma_f32 v[50:51], v[104:105], 2.0, v[50:51] op_sel_hi:[1,0,1] neg_lo:[0,0,1] neg_hi:[0,0,1]
	v_mul_f32_e32 v42, 0x3ec3ef15, v60
	v_pk_mul_f32 v[44:45], v[38:39], s[8:9]
	v_mov_b32_e32 v43, v63
	v_mov_b32_e32 v99, v40
	;; [unrolled: 1-line block ×5, first 2 shown]
	v_pk_add_f32 v[42:43], v[50:51], v[42:43] neg_lo:[0,1] neg_hi:[0,1]
	v_pk_fma_f32 v[62:63], v[38:39], s[8:9], v[46:47] neg_lo:[1,0,0] neg_hi:[1,0,0]
	v_mul_f32_e32 v44, 0x3f6c835e, v38
	v_mov_b32_e32 v52, v106
	v_mov_b32_e32 v36, v98
	v_pk_add_f32 v[40:41], v[48:49], v[98:99] neg_lo:[0,1] neg_hi:[0,1]
	v_pk_add_f32 v[32:33], v[32:33], v[106:107] neg_lo:[0,1] neg_hi:[0,1]
	v_pk_add_f32 v[38:39], v[44:45], v[42:43]
	v_pk_fma_f32 v[44:45], v[60:61], s[10:11], v[62:63] neg_lo:[1,0,0] neg_hi:[1,0,0]
	v_pk_add_f32 v[42:43], v[40:41], v[52:53]
	v_pk_add_f32 v[36:37], v[32:33], v[36:37] neg_lo:[0,1] neg_hi:[0,1]
	v_mul_f32_e32 v130, 0x3ec3ef15, v114
	v_pk_fma_f32 v[60:61], v[46:47], 2.0, v[44:45] op_sel_hi:[1,0,1] neg_lo:[0,0,1] neg_hi:[0,0,1]
	v_fma_f32 v47, v33, 2.0, -v37
	v_mov_b32_e32 v32, v42
	v_mov_b32_e32 v33, v36
	;; [unrolled: 1-line block ×3, first 2 shown]
	v_pk_add_f32 v[52:53], v[40:41], v[52:53] neg_lo:[0,1] neg_hi:[0,1]
	v_pk_fma_f32 v[62:63], v[122:123], 2.0, v[32:33] op_sel_hi:[1,0,1] neg_lo:[0,0,1] neg_hi:[0,0,1]
	v_pk_add_f32 v[32:33], v[34:35], v[130:131] neg_lo:[0,1] neg_hi:[0,1]
	v_fma_f32 v46, v41, 2.0, -v53
	v_pk_add_f32 v[98:99], v[42:43], v[130:131]
	v_fma_f32 v57, v35, 2.0, -v33
	v_pk_fma_f32 v[34:35], v[124:125], s[10:11], v[62:63] op_sel_hi:[1,0,1] neg_lo:[1,0,0] neg_hi:[1,0,0]
	v_mov_b32_e32 v113, v117
	v_mul_f32_e32 v116, 0x3f6c835e, v129
	v_mul_f32_e32 v114, 0x3f6c835e, v114
	v_mov_b32_e32 v52, v42
	v_mov_b32_e32 v99, v33
	v_pk_add_f32 v[40:41], v[46:47], v[56:57] neg_lo:[0,1] neg_hi:[0,1]
	v_pk_add_f32 v[42:43], v[34:35], v[126:127] op_sel:[0,1] op_sel_hi:[1,0] neg_lo:[0,1] neg_hi:[0,1]
	v_pk_add_f32 v[48:49], v[34:35], v[126:127] op_sel:[0,1] op_sel_hi:[1,0]
	v_fmamk_f32 v56, v129, 0x3ec3ef15, v36
	v_mov_b32_e32 v117, v53
	v_mov_b32_e32 v57, v37
	v_pk_fma_f32 v[32:33], v[46:47], 2.0, v[40:41] op_sel_hi:[1,0,1] neg_lo:[0,0,1] neg_hi:[0,0,1]
	v_mov_b32_e32 v49, v43
	v_pk_add_f32 v[46:47], v[116:117], v[98:99]
	v_pk_add_f32 v[104:105], v[56:57], v[114:115] neg_lo:[0,1] neg_hi:[0,1]
	v_pk_fma_f32 v[34:35], v[62:63], 2.0, v[48:49] op_sel_hi:[1,0,1] neg_lo:[0,0,1] neg_hi:[0,0,1]
	v_pk_fma_f32 v[62:63], v[52:53], 2.0, v[46:47] op_sel_hi:[1,0,1] neg_lo:[0,0,1] neg_hi:[0,0,1]
	;; [unrolled: 1-line block ×3, first 2 shown]
	v_pk_mul_f32 v[36:37], v[58:59], s[2:3] op_sel_hi:[1,0]
	v_pk_fma_f32 v[52:53], v[58:59], s[2:3], v[54:55] op_sel_hi:[1,0,1]
	v_mov_b32_e32 v109, v121
	v_pk_add_f32 v[106:107], v[52:53], v[36:37] op_sel:[0,1] op_sel_hi:[1,0] neg_lo:[0,1] neg_hi:[0,1]
	v_pk_add_f32 v[52:53], v[52:53], v[36:37] op_sel:[0,1] op_sel_hi:[1,0]
	v_mov_b32_e32 v118, v121
	v_mov_b32_e32 v119, v108
	;; [unrolled: 1-line block ×3, first 2 shown]
	v_pk_fma_f32 v[36:37], v[108:109], s[10:11], v[112:113] op_sel_hi:[1,0,1]
	v_pk_fma_f32 v[56:57], v[54:55], 2.0, v[52:53] op_sel_hi:[1,0,1] neg_lo:[0,0,1] neg_hi:[0,0,1]
	v_pk_fma_f32 v[108:109], v[118:119], s[8:9], v[36:37] op_sel_hi:[1,0,1] neg_lo:[1,0,0] neg_hi:[1,0,0]
	v_pk_fma_f32 v[54:55], v[118:119], s[8:9], v[36:37] op_sel_hi:[1,0,1]
	v_pk_fma_f32 v[50:51], v[50:51], 2.0, v[38:39] op_sel_hi:[1,0,1] neg_lo:[0,0,1] neg_hi:[0,0,1]
	v_mov_b32_e32 v55, v109
	v_pk_fma_f32 v[58:59], v[112:113], 2.0, v[54:55] op_sel_hi:[1,0,1] neg_lo:[0,0,1] neg_hi:[0,0,1]
	v_mov_b32_e32 v110, v51
	v_mov_b32_e32 v111, v61
	;; [unrolled: 1-line block ×4, first 2 shown]
	s_barrier
	ds_write_b128 v176, v[110:113] offset:16
	v_mov_b32_e32 v110, v63
	v_mov_b32_e32 v111, v99
	;; [unrolled: 1-line block ×4, first 2 shown]
	ds_write_b128 v176, v[32:35]
	ds_write_b128 v176, v[110:113] offset:32
	ds_write_b128 v176, v[56:59] offset:48
	v_mov_b32_e32 v110, v39
	v_mov_b32_e32 v111, v45
	;; [unrolled: 1-line block ×5, first 2 shown]
	ds_write_b128 v176, v[110:113] offset:80
	v_mov_b32_e32 v110, v47
	v_mov_b32_e32 v111, v105
	;; [unrolled: 1-line block ×6, first 2 shown]
	ds_write_b128 v176, v[40:43] offset:64
	ds_write_b128 v176, v[110:113] offset:96
	;; [unrolled: 1-line block ×3, first 2 shown]
	s_waitcnt lgkmcnt(0)
	s_barrier
	s_and_saveexec_b64 s[2:3], s[0:1]
	s_xor_b64 s[0:1], exec, s[2:3]
	s_cbranch_execnz .LBB0_11
; %bb.6:
	s_andn2_saveexec_b64 s[0:1], s[0:1]
	s_cbranch_execnz .LBB0_12
.LBB0_7:
	s_or_b64 exec, exec, s[0:1]
	s_and_saveexec_b64 s[0:1], vcc
	s_cbranch_execz .LBB0_9
.LBB0_8:
	v_mov_b32_e32 v42, v21
	v_mov_b32_e32 v43, v20
	;; [unrolled: 1-line block ×3, first 2 shown]
	v_pk_mul_f32 v[108:109], v[42:43], v[34:35]
	v_pk_mul_f32 v[106:107], v[42:43], v[106:107]
	v_mov_b32_e32 v108, v109
	v_pk_fma_f32 v[20:21], v[20:21], v[34:35], v[106:107]
	v_pk_fma_f32 v[34:35], v[42:43], v[34:35], v[108:109] neg_lo:[1,0,0] neg_hi:[1,0,0]
	v_pk_mul_f32 v[108:109], v[22:23], v[60:61]
	v_mov_b32_e32 v42, v51
	v_mov_b32_e32 v108, v109
	v_pk_fma_f32 v[42:43], v[22:23], v[42:43], v[108:109]
	v_mov_b32_e32 v111, v22
	v_mov_b32_e32 v22, v17
	;; [unrolled: 1-line block ×4, first 2 shown]
	v_pk_mul_f32 v[22:23], v[22:23], v[50:51]
	v_pk_mul_f32 v[112:113], v[112:113], v[60:61]
	v_pk_fma_f32 v[60:61], v[110:111], v[60:61], v[22:23] neg_lo:[0,0,1] neg_hi:[0,0,1]
	v_pk_mul_f32 v[110:111], v[18:19], v[98:99]
	v_mov_b32_e32 v22, v63
	v_mov_b32_e32 v110, v111
	v_pk_fma_f32 v[50:51], v[16:17], v[50:51], v[112:113]
	v_pk_fma_f32 v[110:111], v[18:19], v[22:23], v[110:111]
	v_mov_b32_e32 v113, v18
	v_mov_b32_e32 v18, v13
	;; [unrolled: 1-line block ×3, first 2 shown]
	v_pk_mul_f32 v[18:19], v[18:19], v[62:63]
	v_mov_b32_e32 v114, v13
	v_pk_mul_f32 v[114:115], v[114:115], v[98:99]
	v_pk_fma_f32 v[98:99], v[112:113], v[98:99], v[18:19] neg_lo:[0,0,1] neg_hi:[0,0,1]
	v_mov_b32_e32 v18, v57
	v_pk_mul_f32 v[112:113], v[100:101], v[56:57]
	v_pk_mul_f32 v[18:19], v[100:101], v[18:19]
	v_mov_b32_e32 v112, v113
	v_mov_b32_e32 v104, v1
	;; [unrolled: 1-line block ×3, first 2 shown]
	v_pk_fma_f32 v[14:15], v[14:15], v[56:57], v[18:19]
	v_pk_fma_f32 v[56:57], v[100:101], v[56:57], v[112:113] neg_lo:[1,0,0] neg_hi:[1,0,0]
	v_mov_b32_e32 v100, v59
	v_pk_mul_f32 v[100:101], v[104:105], v[100:101]
	v_pk_fma_f32 v[12:13], v[12:13], v[62:63], v[114:115]
	v_pk_fma_f32 v[100:101], v[0:1], v[58:59], v[100:101]
	s_waitcnt lgkmcnt(3)
	v_mov_b32_e32 v0, v37
	v_pk_mul_f32 v[112:113], v[6:7], v[0:1] op_sel_hi:[1,0]
	v_pk_mul_f32 v[0:1], v[104:105], v[58:59]
	v_mov_b32_e32 v116, v61
	v_mov_b32_e32 v0, v1
	v_pk_fma_f32 v[58:59], v[104:105], v[58:59], v[0:1] neg_lo:[1,0,0] neg_hi:[1,0,0]
	v_mov_b32_e32 v0, v49
	v_pk_mul_f32 v[114:115], v[4:5], v[0:1] op_sel_hi:[1,0]
	v_mov_b32_e32 v0, v33
	v_pk_add_f32 v[0:1], v[34:35], v[0:1]
	s_waitcnt lgkmcnt(0)
	v_pk_mul_f32 v[106:107], v[30:31], v[102:103] op_sel:[0,1]
	v_pk_add_f32 v[0:1], v[116:117], v[0:1]
	v_mov_b32_e32 v116, v99
	v_pk_add_f32 v[0:1], v[60:61], v[0:1]
	v_mov_b32_e32 v108, v55
	;; [unrolled: 2-line block ×3, first 2 shown]
	v_pk_add_f32 v[116:117], v[98:99], v[0:1]
	v_pk_add_f32 v[0:1], v[32:33], v[20:21]
	v_pk_mul_f32 v[108:109], v[28:29], v[108:109] op_sel_hi:[1,0]
	v_pk_add_f32 v[0:1], v[42:43], v[0:1]
	v_pk_mul_f32 v[16:17], v[26:27], v[16:17] op_sel_hi:[1,0]
	v_pk_add_f32 v[0:1], v[50:51], v[0:1]
	v_pk_fma_f32 v[120:121], v[30:31], v[102:103], v[106:107] op_sel:[0,0,1] op_sel_hi:[1,0,0]
	v_pk_add_f32 v[0:1], v[110:111], v[0:1]
	v_pk_fma_f32 v[30:31], v[30:31], v[102:103], v[106:107] op_sel:[0,0,1] op_sel_hi:[1,0,0] neg_lo:[1,0,0] neg_hi:[1,0,0]
	v_pk_add_f32 v[118:119], v[12:13], v[0:1]
	v_mov_b32_e32 v1, v34
	v_pk_mul_f32 v[104:105], v[2:3], v[40:41] op_sel:[0,1]
	v_pk_add_f32 v[106:107], v[20:21], v[120:121] neg_lo:[0,1] neg_hi:[0,1]
	v_pk_add_f32 v[0:1], v[30:31], v[0:1]
	v_pk_fma_f32 v[122:123], v[28:29], v[54:55], v[108:109] op_sel:[0,0,1] op_sel_hi:[1,0,0]
	v_pk_fma_f32 v[28:29], v[28:29], v[54:55], v[108:109] op_sel:[0,0,1] op_sel_hi:[1,0,0] neg_lo:[1,0,0] neg_hi:[1,0,0]
	v_pk_fma_f32 v[108:109], v[26:27], v[52:53], v[16:17] op_sel:[0,0,1] op_sel_hi:[1,0,0]
	v_pk_fma_f32 v[26:27], v[26:27], v[52:53], v[16:17] op_sel:[0,0,1] op_sel_hi:[1,0,0] neg_lo:[1,0,0] neg_hi:[1,0,0]
	v_pk_add_f32 v[16:17], v[120:121], v[20:21]
	v_mov_b32_e32 v20, v14
	v_mov_b32_e32 v21, v56
	;; [unrolled: 1-line block ×4, first 2 shown]
	v_pk_fma_f32 v[134:135], v[2:3], v[40:41], v[104:105] op_sel:[0,0,1] op_sel_hi:[1,0,0]
	v_pk_fma_f32 v[104:105], v[2:3], v[40:41], v[104:105] op_sel:[0,0,1] op_sel_hi:[1,0,0] neg_lo:[1,0,0] neg_hi:[1,0,0]
	v_mov_b32_e32 v0, v31
	v_pk_add_f32 v[20:21], v[20:21], v[118:119]
	v_mov_b32_e32 v30, v100
	v_mov_b32_e32 v31, v58
	;; [unrolled: 1-line block ×4, first 2 shown]
	v_pk_fma_f32 v[132:133], v[4:5], v[48:49], v[114:115] op_sel:[0,0,1] op_sel_hi:[1,0,0]
	v_pk_fma_f32 v[114:115], v[4:5], v[48:49], v[114:115] op_sel:[0,0,1] op_sel_hi:[1,0,0] neg_lo:[1,0,0] neg_hi:[1,0,0]
	v_mov_b32_e32 v2, v134
	v_mov_b32_e32 v3, v105
	v_pk_add_f32 v[20:21], v[30:31], v[20:21]
	v_pk_mul_f32 v[62:63], v[10:11], v[62:63] op_sel_hi:[1,0]
	v_pk_mul_f32 v[18:19], v[8:9], v[18:19] op_sel_hi:[1,0]
	v_pk_fma_f32 v[130:131], v[6:7], v[36:37], v[112:113] op_sel:[0,0,1] op_sel_hi:[1,0,0]
	v_pk_fma_f32 v[112:113], v[6:7], v[36:37], v[112:113] op_sel:[0,0,1] op_sel_hi:[1,0,0] neg_lo:[1,0,0] neg_hi:[1,0,0]
	v_mov_b32_e32 v4, v132
	v_mov_b32_e32 v5, v115
	v_pk_add_f32 v[2:3], v[2:3], v[20:21]
	v_mov_b32_e32 v22, v47
	v_pk_fma_f32 v[126:127], v[10:11], v[44:45], v[62:63] op_sel:[0,0,1] op_sel_hi:[1,0,0]
	v_pk_fma_f32 v[10:11], v[10:11], v[44:45], v[62:63] op_sel:[0,0,1] op_sel_hi:[1,0,0] neg_lo:[1,0,0] neg_hi:[1,0,0]
	v_pk_fma_f32 v[62:63], v[8:9], v[38:39], v[18:19] op_sel:[0,0,1] op_sel_hi:[1,0,0]
	v_pk_fma_f32 v[128:129], v[8:9], v[38:39], v[18:19] op_sel:[0,0,1] op_sel_hi:[1,0,0] neg_lo:[1,0,0] neg_hi:[1,0,0]
	v_mov_b32_e32 v6, v130
	v_mov_b32_e32 v7, v113
	v_pk_add_f32 v[2:3], v[4:5], v[2:3]
	v_pk_mul_f32 v[22:23], v[24:25], v[22:23] op_sel_hi:[1,0]
	v_mov_b32_e32 v8, v62
	v_mov_b32_e32 v9, v129
	v_pk_add_f32 v[2:3], v[6:7], v[2:3]
	v_pk_fma_f32 v[124:125], v[24:25], v[46:47], v[22:23] op_sel:[0,0,1] op_sel_hi:[1,0,0]
	v_pk_fma_f32 v[46:47], v[24:25], v[46:47], v[22:23] op_sel:[0,0,1] op_sel_hi:[1,0,0] neg_lo:[1,0,0] neg_hi:[1,0,0]
	v_mov_b32_e32 v24, v126
	v_mov_b32_e32 v25, v11
	v_pk_add_f32 v[2:3], v[8:9], v[2:3]
	v_mov_b32_e32 v22, v124
	v_mov_b32_e32 v23, v47
	v_pk_add_f32 v[2:3], v[24:25], v[2:3]
	;; [unrolled: 3-line block ×4, first 2 shown]
	v_mov_b32_e32 v102, v120
	v_pk_add_f32 v[2:3], v[54:55], v[2:3]
	s_mov_b32 s26, 0x3f6eb680
	v_pk_add_f32 v[2:3], v[102:103], v[2:3]
	v_pk_add_f32 v[18:19], v[34:35], v[0:1] neg_lo:[0,1] neg_hi:[0,1]
	ds_write_b64 v83, v[2:3]
	v_pk_add_f32 v[24:25], v[42:43], v[122:123]
	v_pk_add_f32 v[2:3], v[42:43], v[122:123] neg_lo:[0,1] neg_hi:[0,1]
	v_pk_add_f32 v[42:43], v[12:13], v[126:127]
	v_pk_add_f32 v[8:9], v[12:13], v[126:127] neg_lo:[0,1] neg_hi:[0,1]
	v_mov_b32_e32 v17, v106
	s_mov_b32 s27, 0xbeb8f4ab
	s_mov_b32 s16, 0x3f3d2fb0
	v_mov_b32_e32 v25, v2
	v_pk_add_f32 v[20:21], v[60:61], v[28:29] neg_lo:[0,1] neg_hi:[0,1]
	v_pk_add_f32 v[2:3], v[60:61], v[28:29]
	v_mov_b32_e32 v43, v8
	v_pk_add_f32 v[28:29], v[98:99], v[10:11] op_sel:[0,1] neg_lo:[0,1] neg_hi:[0,1]
	v_pk_add_f32 v[8:9], v[98:99], v[10:11] op_sel_hi:[0,1]
	v_pk_add_f32 v[44:45], v[14:15], v[62:63]
	v_pk_add_f32 v[10:11], v[14:15], v[62:63] neg_lo:[0,1] neg_hi:[0,1]
	v_pk_add_f32 v[48:49], v[134:135], v[132:133]
	v_pk_add_f32 v[14:15], v[134:135], v[132:133] neg_lo:[0,1] neg_hi:[0,1]
	v_pk_mul_f32 v[52:53], v[16:17], s[26:27]
	v_mov_b32_e32 v0, v18
	s_mov_b32 s20, s27
	s_mov_b32 s21, s26
	;; [unrolled: 1-line block ×3, first 2 shown]
	v_mov_b32_e32 v2, v21
	v_pk_add_f32 v[30:31], v[50:51], v[108:109]
	v_pk_add_f32 v[4:5], v[50:51], v[108:109] neg_lo:[0,1] neg_hi:[0,1]
	v_pk_add_f32 v[38:39], v[110:111], v[124:125]
	v_pk_add_f32 v[6:7], v[110:111], v[124:125] neg_lo:[0,1] neg_hi:[0,1]
	v_mov_b32_e32 v45, v10
	v_pk_add_f32 v[34:35], v[56:57], v[128:129] op_sel:[0,1] neg_lo:[0,1] neg_hi:[0,1]
	v_pk_add_f32 v[10:11], v[56:57], v[128:129] op_sel_hi:[0,1]
	v_mov_b32_e32 v49, v14
	v_pk_add_f32 v[40:41], v[104:105], v[114:115] neg_lo:[0,1] neg_hi:[0,1]
	v_pk_add_f32 v[14:15], v[104:105], v[114:115]
	v_pk_mul_f32 v[56:57], v[24:25], s[16:17]
	s_mov_b32 s2, s17
	s_mov_b32 s3, s16
	;; [unrolled: 1-line block ×3, first 2 shown]
	v_pk_fma_f32 v[50:51], v[18:19], s[20:21], v[52:53] neg_lo:[1,0,0] neg_hi:[1,0,0]
	v_pk_fma_f32 v[104:105], v[0:1], s[20:21], v[52:53]
	v_mov_b32_e32 v31, v4
	v_pk_add_f32 v[22:23], v[60:61], v[26:27] op_sel:[0,1] neg_lo:[0,1] neg_hi:[0,1]
	v_pk_add_f32 v[4:5], v[60:61], v[26:27] op_sel_hi:[0,1]
	v_mov_b32_e32 v39, v6
	v_pk_add_f32 v[26:27], v[98:99], v[46:47] neg_lo:[0,1] neg_hi:[0,1]
	v_pk_add_f32 v[6:7], v[98:99], v[46:47]
	v_pk_add_f32 v[46:47], v[100:101], v[130:131]
	v_pk_add_f32 v[12:13], v[100:101], v[130:131] neg_lo:[0,1] neg_hi:[0,1]
	s_mov_b32 s39, 0xbf65296c
	v_mov_b32_e32 v51, v105
	v_pk_fma_f32 v[106:107], v[20:21], s[2:3], v[56:57] op_sel:[1,0,0] neg_lo:[1,0,0] neg_hi:[1,0,0]
	v_pk_fma_f32 v[108:109], v[2:3], s[2:3], v[56:57]
	v_mov_b32_e32 v4, v22
	v_mov_b32_e32 v47, v12
	v_pk_add_f32 v[36:37], v[58:59], v[112:113] op_sel:[0,1] neg_lo:[0,1] neg_hi:[0,1]
	v_pk_add_f32 v[12:13], v[58:59], v[112:113] op_sel_hi:[0,1]
	v_pk_mul_f32 v[58:59], v[30:31], s[38:39]
	s_mov_b32 s28, s39
	s_mov_b32 s29, s38
	;; [unrolled: 1-line block ×3, first 2 shown]
	v_pk_add_f32 v[50:51], v[32:33], v[50:51]
	v_mov_b32_e32 v107, v109
	s_mov_b32 s19, 0xbf7ee86f
	v_pk_add_f32 v[50:51], v[106:107], v[50:51]
	v_pk_fma_f32 v[106:107], v[22:23], s[28:29], v[58:59] neg_lo:[1,0,0] neg_hi:[1,0,0]
	v_pk_fma_f32 v[110:111], v[4:5], s[28:29], v[58:59]
	v_mov_b32_e32 v6, v27
	v_pk_mul_f32 v[60:61], v[38:39], s[18:19]
	s_mov_b32 s8, s19
	s_mov_b32 s9, s18
	;; [unrolled: 1-line block ×3, first 2 shown]
	v_mov_b32_e32 v107, v111
	s_mov_b32 s55, 0xbf763a35
	v_pk_add_f32 v[50:51], v[106:107], v[50:51]
	v_pk_fma_f32 v[106:107], v[26:27], s[8:9], v[60:61] op_sel:[1,0,0] neg_lo:[1,0,0] neg_hi:[1,0,0]
	v_pk_fma_f32 v[112:113], v[6:7], s[8:9], v[60:61]
	v_mov_b32_e32 v8, v28
	v_pk_mul_f32 v[62:63], v[42:43], s[54:55]
	s_mov_b32 s50, s55
	s_mov_b32 s51, s54
	;; [unrolled: 1-line block ×3, first 2 shown]
	v_mov_b32_e32 v107, v113
	s_mov_b32 s23, 0xbf4c4adb
	v_pk_add_f32 v[50:51], v[106:107], v[50:51]
	v_pk_fma_f32 v[106:107], v[28:29], s[50:51], v[62:63] neg_lo:[1,0,0] neg_hi:[1,0,0]
	v_pk_fma_f32 v[114:115], v[8:9], s[50:51], v[62:63]
	v_pk_fma_f32 v[56:57], v[2:3], s[2:3], v[56:57] neg_lo:[0,0,1] neg_hi:[0,0,1]
	v_mov_b32_e32 v10, v34
	v_pk_mul_f32 v[98:99], v[44:45], s[22:23]
	s_mov_b32 s10, s23
	s_mov_b32 s11, s22
	;; [unrolled: 1-line block ×3, first 2 shown]
	v_mov_b32_e32 v107, v115
	v_mov_b32_e32 v109, v57
	v_pk_fma_f32 v[56:57], v[4:5], s[28:29], v[58:59] neg_lo:[0,0,1] neg_hi:[0,0,1]
	s_mov_b32 s37, 0xbf06c442
	v_pk_add_f32 v[50:51], v[106:107], v[50:51]
	v_pk_fma_f32 v[106:107], v[34:35], s[10:11], v[98:99] neg_lo:[1,0,0] neg_hi:[1,0,0]
	v_pk_fma_f32 v[116:117], v[10:11], s[10:11], v[98:99]
	v_mov_b32_e32 v111, v57
	v_pk_fma_f32 v[56:57], v[6:7], s[8:9], v[60:61] neg_lo:[0,0,1] neg_hi:[0,0,1]
	v_mov_b32_e32 v12, v36
	v_pk_mul_f32 v[100:101], v[46:47], s[36:37]
	s_mov_b32 s30, s37
	s_mov_b32 s31, s36
	;; [unrolled: 1-line block ×3, first 2 shown]
	v_mov_b32_e32 v107, v117
	v_mov_b32_e32 v113, v57
	v_pk_fma_f32 v[56:57], v[8:9], s[50:51], v[62:63] neg_lo:[0,0,1] neg_hi:[0,0,1]
	s_mov_b32 s25, 0xbe3c28d5
	v_pk_add_f32 v[50:51], v[106:107], v[50:51]
	v_pk_fma_f32 v[106:107], v[36:37], s[30:31], v[100:101] neg_lo:[1,0,0] neg_hi:[1,0,0]
	v_pk_fma_f32 v[118:119], v[12:13], s[30:31], v[100:101]
	v_mov_b32_e32 v115, v57
	v_pk_fma_f32 v[56:57], v[10:11], s[10:11], v[98:99] neg_lo:[0,0,1] neg_hi:[0,0,1]
	v_mov_b32_e32 v14, v41
	v_pk_mul_f32 v[102:103], v[48:49], s[24:25]
	s_mov_b32 s14, s25
	s_mov_b32 s15, s24
	v_mov_b32_e32 v107, v119
	v_mov_b32_e32 v117, v57
	v_pk_fma_f32 v[56:57], v[12:13], s[30:31], v[100:101] neg_lo:[0,0,1] neg_hi:[0,0,1]
	v_pk_add_f32 v[50:51], v[106:107], v[50:51]
	v_pk_fma_f32 v[106:107], v[40:41], s[14:15], v[102:103] op_sel:[1,0,0] neg_lo:[1,0,0] neg_hi:[1,0,0]
	v_pk_fma_f32 v[120:121], v[14:15], s[14:15], v[102:103]
	v_mov_b32_e32 v119, v57
	v_pk_fma_f32 v[56:57], v[14:15], s[14:15], v[102:103] neg_lo:[0,0,1] neg_hi:[0,0,1]
	v_mov_b32_e32 v107, v121
	v_mov_b32_e32 v121, v57
	v_pk_mul_f32 v[56:57], v[16:17], s[24:25]
	s_mov_b32 s43, 0x3eb8f4ab
	s_mov_b32 s42, s26
	v_pk_fma_f32 v[58:59], v[18:19], s[14:15], v[56:57] neg_lo:[1,0,0] neg_hi:[1,0,0]
	v_pk_fma_f32 v[60:61], v[0:1], s[14:15], v[56:57]
	v_pk_mul_f32 v[62:63], v[24:25], s[42:43]
	s_mov_b32 s34, s43
	s_mov_b32 s35, s26
	v_mov_b32_e32 v59, v61
	v_pk_fma_f32 v[98:99], v[20:21], s[34:35], v[62:63] op_sel:[1,0,0] neg_lo:[1,0,0] neg_hi:[1,0,0]
	v_pk_fma_f32 v[100:101], v[2:3], s[34:35], v[62:63]
	v_pk_fma_f32 v[52:53], v[0:1], s[20:21], v[52:53] neg_lo:[0,0,1] neg_hi:[0,0,1]
	v_pk_add_f32 v[58:59], v[32:33], v[58:59]
	v_mov_b32_e32 v99, v101
	v_mov_b32_e32 v105, v53
	v_pk_add_f32 v[58:59], v[98:99], v[58:59]
	v_pk_mul_f32 v[98:99], v[30:31], s[36:37]
	v_pk_add_f32 v[52:53], v[32:33], v[104:105]
	v_pk_fma_f32 v[102:103], v[22:23], s[30:31], v[98:99] neg_lo:[1,0,0] neg_hi:[1,0,0]
	v_pk_fma_f32 v[104:105], v[4:5], s[30:31], v[98:99]
	s_mov_b32 s49, 0x3f2c7751
	v_mov_b32_e32 v103, v105
	s_mov_b32 s48, s16
	v_pk_add_f32 v[58:59], v[102:103], v[58:59]
	v_pk_mul_f32 v[102:103], v[38:39], s[48:49]
	s_mov_b32 s46, s49
	s_mov_b32 s47, s16
	v_pk_add_f32 v[50:51], v[106:107], v[50:51]
	v_pk_add_f32 v[52:53], v[108:109], v[52:53]
	v_pk_fma_f32 v[106:107], v[26:27], s[46:47], v[102:103] op_sel:[1,0,0] neg_lo:[1,0,0] neg_hi:[1,0,0]
	v_pk_fma_f32 v[108:109], v[6:7], s[46:47], v[102:103]
	v_pk_add_f32 v[52:53], v[110:111], v[52:53]
	v_mov_b32_e32 v107, v109
	v_pk_add_f32 v[58:59], v[106:107], v[58:59]
	v_pk_mul_f32 v[106:107], v[42:43], s[22:23]
	v_pk_add_f32 v[52:53], v[112:113], v[52:53]
	v_pk_fma_f32 v[110:111], v[28:29], s[10:11], v[106:107] neg_lo:[1,0,0] neg_hi:[1,0,0]
	v_pk_fma_f32 v[112:113], v[8:9], s[10:11], v[106:107]
	s_mov_b32 s45, 0x3f65296c
	v_mov_b32_e32 v111, v113
	s_mov_b32 s44, s38
	v_pk_fma_f32 v[56:57], v[0:1], s[14:15], v[56:57] neg_lo:[0,0,1] neg_hi:[0,0,1]
	v_pk_add_f32 v[52:53], v[114:115], v[52:53]
	v_pk_add_f32 v[58:59], v[110:111], v[58:59]
	v_pk_mul_f32 v[110:111], v[44:45], s[44:45]
	s_mov_b32 s40, s45
	s_mov_b32 s41, s38
	v_mov_b32_e32 v61, v57
	v_pk_add_f32 v[52:53], v[116:117], v[52:53]
	v_pk_fma_f32 v[114:115], v[34:35], s[40:41], v[110:111] neg_lo:[1,0,0] neg_hi:[1,0,0]
	v_pk_fma_f32 v[116:117], v[10:11], s[40:41], v[110:111]
	v_pk_add_f32 v[56:57], v[32:33], v[60:61]
	v_pk_fma_f32 v[60:61], v[2:3], s[34:35], v[62:63] neg_lo:[0,0,1] neg_hi:[0,0,1]
	v_mov_b32_e32 v115, v117
	v_mov_b32_e32 v101, v61
	v_pk_fma_f32 v[60:61], v[4:5], s[30:31], v[98:99] neg_lo:[0,0,1] neg_hi:[0,0,1]
	v_pk_add_f32 v[52:53], v[118:119], v[52:53]
	v_pk_add_f32 v[58:59], v[114:115], v[58:59]
	v_pk_mul_f32 v[114:115], v[46:47], s[54:55]
	v_mov_b32_e32 v105, v61
	v_pk_fma_f32 v[60:61], v[6:7], s[46:47], v[102:103] neg_lo:[0,0,1] neg_hi:[0,0,1]
	v_pk_add_f32 v[52:53], v[120:121], v[52:53]
	v_pk_fma_f32 v[118:119], v[36:37], s[50:51], v[114:115] neg_lo:[1,0,0] neg_hi:[1,0,0]
	v_pk_fma_f32 v[120:121], v[12:13], s[50:51], v[114:115]
	v_mov_b32_e32 v109, v61
	v_pk_fma_f32 v[60:61], v[8:9], s[10:11], v[106:107] neg_lo:[0,0,1] neg_hi:[0,0,1]
	v_mov_b32_e32 v119, v121
	s_mov_b32 s67, 0x3f7ee86f
	s_mov_b32 s66, s18
	v_mov_b32_e32 v113, v61
	v_pk_fma_f32 v[60:61], v[10:11], s[40:41], v[110:111] neg_lo:[0,0,1] neg_hi:[0,0,1]
	v_pk_add_f32 v[58:59], v[118:119], v[58:59]
	v_pk_mul_f32 v[118:119], v[48:49], s[66:67]
	s_mov_b32 s60, s67
	s_mov_b32 s61, s18
	v_mov_b32_e32 v117, v61
	v_pk_fma_f32 v[60:61], v[12:13], s[50:51], v[114:115] neg_lo:[0,0,1] neg_hi:[0,0,1]
	v_pk_fma_f32 v[122:123], v[40:41], s[60:61], v[118:119] op_sel:[1,0,0] neg_lo:[1,0,0] neg_hi:[1,0,0]
	v_pk_fma_f32 v[124:125], v[14:15], s[60:61], v[118:119]
	v_mov_b32_e32 v121, v61
	v_pk_fma_f32 v[60:61], v[14:15], s[60:61], v[118:119] neg_lo:[0,0,1] neg_hi:[0,0,1]
	v_mov_b32_e32 v123, v125
	v_mov_b32_e32 v125, v61
	v_pk_mul_f32 v[60:61], v[16:17], s[36:37]
	v_pk_add_f32 v[56:57], v[100:101], v[56:57]
	v_pk_fma_f32 v[62:63], v[18:19], s[30:31], v[60:61] neg_lo:[1,0,0] neg_hi:[1,0,0]
	v_pk_fma_f32 v[98:99], v[0:1], s[30:31], v[60:61]
	v_pk_mul_f32 v[100:101], v[24:25], s[44:45]
	v_pk_add_f32 v[56:57], v[104:105], v[56:57]
	v_mov_b32_e32 v63, v99
	v_pk_fma_f32 v[102:103], v[20:21], s[40:41], v[100:101] op_sel:[1,0,0] neg_lo:[1,0,0] neg_hi:[1,0,0]
	v_pk_fma_f32 v[104:105], v[2:3], s[40:41], v[100:101]
	v_pk_add_f32 v[62:63], v[32:33], v[62:63]
	v_mov_b32_e32 v103, v105
	v_pk_add_f32 v[62:63], v[102:103], v[62:63]
	v_pk_mul_f32 v[102:103], v[30:31], s[18:19]
	v_pk_add_f32 v[56:57], v[108:109], v[56:57]
	v_pk_fma_f32 v[106:107], v[22:23], s[8:9], v[102:103] neg_lo:[1,0,0] neg_hi:[1,0,0]
	v_pk_fma_f32 v[108:109], v[4:5], s[8:9], v[102:103]
	s_mov_b32 s63, 0x3f4c4adb
	v_mov_b32_e32 v107, v109
	s_mov_b32 s62, s22
	v_pk_add_f32 v[62:63], v[106:107], v[62:63]
	v_pk_mul_f32 v[106:107], v[38:39], s[62:63]
	s_mov_b32 s58, s63
	s_mov_b32 s59, s22
	v_pk_add_f32 v[56:57], v[112:113], v[56:57]
	v_pk_fma_f32 v[110:111], v[26:27], s[58:59], v[106:107] op_sel:[1,0,0] neg_lo:[1,0,0] neg_hi:[1,0,0]
	v_pk_fma_f32 v[112:113], v[6:7], s[58:59], v[106:107]
	v_pk_add_f32 v[56:57], v[116:117], v[56:57]
	v_mov_b32_e32 v111, v113
	v_pk_add_f32 v[62:63], v[110:111], v[62:63]
	v_pk_mul_f32 v[110:111], v[42:43], s[26:27]
	v_pk_fma_f32 v[60:61], v[0:1], s[30:31], v[60:61] neg_lo:[0,0,1] neg_hi:[0,0,1]
	v_pk_fma_f32 v[114:115], v[28:29], s[20:21], v[110:111] neg_lo:[1,0,0] neg_hi:[1,0,0]
	v_pk_fma_f32 v[116:117], v[8:9], s[20:21], v[110:111]
	v_mov_b32_e32 v99, v61
	v_mov_b32_e32 v115, v117
	v_pk_add_f32 v[62:63], v[114:115], v[62:63]
	v_pk_mul_f32 v[114:115], v[44:45], s[24:25]
	v_pk_add_f32 v[56:57], v[120:121], v[56:57]
	v_pk_fma_f32 v[118:119], v[34:35], s[14:15], v[114:115] neg_lo:[1,0,0] neg_hi:[1,0,0]
	v_pk_fma_f32 v[120:121], v[10:11], s[14:15], v[114:115]
	v_pk_add_f32 v[60:61], v[32:33], v[98:99]
	v_pk_fma_f32 v[98:99], v[2:3], s[40:41], v[100:101] neg_lo:[0,0,1] neg_hi:[0,0,1]
	v_mov_b32_e32 v119, v121
	v_mov_b32_e32 v105, v99
	v_pk_fma_f32 v[98:99], v[4:5], s[8:9], v[102:103] neg_lo:[0,0,1] neg_hi:[0,0,1]
	v_pk_add_f32 v[62:63], v[118:119], v[62:63]
	v_pk_mul_f32 v[118:119], v[46:47], s[48:49]
	v_pk_add_f32 v[60:61], v[104:105], v[60:61]
	v_mov_b32_e32 v109, v99
	v_pk_fma_f32 v[98:99], v[6:7], s[58:59], v[106:107] neg_lo:[0,0,1] neg_hi:[0,0,1]
	v_pk_add_f32 v[58:59], v[122:123], v[58:59]
	v_pk_add_f32 v[56:57], v[124:125], v[56:57]
	v_pk_fma_f32 v[122:123], v[36:37], s[46:47], v[118:119] neg_lo:[1,0,0] neg_hi:[1,0,0]
	v_pk_fma_f32 v[124:125], v[12:13], s[46:47], v[118:119]
	v_pk_add_f32 v[60:61], v[108:109], v[60:61]
	v_mov_b32_e32 v113, v99
	v_pk_fma_f32 v[98:99], v[8:9], s[20:21], v[110:111] neg_lo:[0,0,1] neg_hi:[0,0,1]
	v_mov_b32_e32 v123, v125
	v_pk_add_f32 v[60:61], v[112:113], v[60:61]
	v_mov_b32_e32 v117, v99
	v_pk_fma_f32 v[98:99], v[10:11], s[14:15], v[114:115] neg_lo:[0,0,1] neg_hi:[0,0,1]
	v_pk_add_f32 v[62:63], v[122:123], v[62:63]
	v_pk_mul_f32 v[122:123], v[48:49], s[54:55]
	v_pk_add_f32 v[60:61], v[116:117], v[60:61]
	v_mov_b32_e32 v121, v99
	v_pk_fma_f32 v[98:99], v[12:13], s[46:47], v[118:119] neg_lo:[0,0,1] neg_hi:[0,0,1]
	v_pk_fma_f32 v[126:127], v[40:41], s[50:51], v[122:123] op_sel:[1,0,0] neg_lo:[1,0,0] neg_hi:[1,0,0]
	v_pk_fma_f32 v[128:129], v[14:15], s[50:51], v[122:123]
	v_pk_add_f32 v[60:61], v[120:121], v[60:61]
	v_mov_b32_e32 v125, v99
	v_pk_fma_f32 v[98:99], v[14:15], s[50:51], v[122:123] neg_lo:[0,0,1] neg_hi:[0,0,1]
	v_mov_b32_e32 v127, v129
	v_pk_add_f32 v[60:61], v[124:125], v[60:61]
	v_mov_b32_e32 v129, v99
	v_lshl_add_u32 v54, v174, 3, v175
	v_pk_add_f32 v[60:61], v[128:129], v[60:61]
	v_pk_add_f32 v[62:63], v[126:127], v[62:63]
	ds_write2_b64 v54, v[60:61], v[56:57] offset0:112 offset1:128
	ds_write2_b64 v54, v[58:59], v[62:63] offset0:144 offset1:160
	v_pk_mul_f32 v[56:57], v[16:17], s[22:23]
	s_mov_b32 s57, 0x3f763a35
	s_mov_b32 s56, s54
	v_pk_fma_f32 v[58:59], v[18:19], s[10:11], v[56:57] neg_lo:[1,0,0] neg_hi:[1,0,0]
	v_pk_fma_f32 v[60:61], v[0:1], s[10:11], v[56:57]
	v_pk_mul_f32 v[62:63], v[24:25], s[56:57]
	s_mov_b32 s52, s57
	s_mov_b32 s53, s54
	v_mov_b32_e32 v59, v61
	v_pk_fma_f32 v[98:99], v[20:21], s[52:53], v[62:63] op_sel:[1,0,0] neg_lo:[1,0,0] neg_hi:[1,0,0]
	v_pk_fma_f32 v[100:101], v[2:3], s[52:53], v[62:63]
	v_pk_add_f32 v[58:59], v[32:33], v[58:59]
	v_mov_b32_e32 v99, v101
	v_pk_add_f32 v[58:59], v[98:99], v[58:59]
	v_pk_mul_f32 v[98:99], v[30:31], s[26:27]
	v_pk_fma_f32 v[56:57], v[0:1], s[10:11], v[56:57] neg_lo:[0,0,1] neg_hi:[0,0,1]
	v_pk_fma_f32 v[102:103], v[22:23], s[20:21], v[98:99] neg_lo:[1,0,0] neg_hi:[1,0,0]
	v_pk_fma_f32 v[104:105], v[4:5], s[20:21], v[98:99]
	v_mov_b32_e32 v61, v57
	v_mov_b32_e32 v103, v105
	v_pk_add_f32 v[58:59], v[102:103], v[58:59]
	v_pk_mul_f32 v[102:103], v[38:39], s[36:37]
	v_pk_add_f32 v[56:57], v[32:33], v[60:61]
	v_pk_fma_f32 v[106:107], v[26:27], s[30:31], v[102:103] op_sel:[1,0,0] neg_lo:[1,0,0] neg_hi:[1,0,0]
	v_pk_fma_f32 v[108:109], v[6:7], s[30:31], v[102:103]
	v_pk_fma_f32 v[60:61], v[2:3], s[52:53], v[62:63] neg_lo:[0,0,1] neg_hi:[0,0,1]
	v_mov_b32_e32 v107, v109
	v_pk_add_f32 v[58:59], v[106:107], v[58:59]
	v_pk_mul_f32 v[106:107], v[42:43], s[66:67]
	v_mov_b32_e32 v101, v61
	v_pk_fma_f32 v[110:111], v[28:29], s[60:61], v[106:107] neg_lo:[1,0,0] neg_hi:[1,0,0]
	v_pk_fma_f32 v[112:113], v[8:9], s[60:61], v[106:107]
	v_pk_fma_f32 v[60:61], v[4:5], s[20:21], v[98:99] neg_lo:[0,0,1] neg_hi:[0,0,1]
	v_mov_b32_e32 v111, v113
	v_pk_add_f32 v[58:59], v[110:111], v[58:59]
	v_pk_mul_f32 v[110:111], v[44:45], s[16:17]
	v_mov_b32_e32 v105, v61
	v_pk_fma_f32 v[114:115], v[34:35], s[2:3], v[110:111] neg_lo:[1,0,0] neg_hi:[1,0,0]
	;; [unrolled: 7-line block ×3, first 2 shown]
	v_pk_fma_f32 v[120:121], v[12:13], s[14:15], v[114:115]
	v_pk_fma_f32 v[60:61], v[8:9], s[60:61], v[106:107] neg_lo:[0,0,1] neg_hi:[0,0,1]
	v_mov_b32_e32 v119, v121
	v_mov_b32_e32 v113, v61
	v_pk_fma_f32 v[60:61], v[10:11], s[2:3], v[110:111] neg_lo:[0,0,1] neg_hi:[0,0,1]
	v_pk_add_f32 v[58:59], v[118:119], v[58:59]
	v_pk_mul_f32 v[118:119], v[48:49], s[44:45]
	v_mov_b32_e32 v117, v61
	v_pk_fma_f32 v[60:61], v[12:13], s[14:15], v[114:115] neg_lo:[0,0,1] neg_hi:[0,0,1]
	v_pk_fma_f32 v[122:123], v[40:41], s[40:41], v[118:119] op_sel:[1,0,0] neg_lo:[1,0,0] neg_hi:[1,0,0]
	v_pk_fma_f32 v[124:125], v[14:15], s[40:41], v[118:119]
	v_mov_b32_e32 v121, v61
	v_pk_fma_f32 v[60:61], v[14:15], s[40:41], v[118:119] neg_lo:[0,0,1] neg_hi:[0,0,1]
	v_mov_b32_e32 v123, v125
	v_mov_b32_e32 v125, v61
	v_pk_mul_f32 v[60:61], v[16:17], s[54:55]
	s_mov_b32 s65, 0x3f06c442
	s_mov_b32 s64, s36
	v_pk_add_f32 v[56:57], v[100:101], v[56:57]
	v_pk_fma_f32 v[62:63], v[18:19], s[50:51], v[60:61] neg_lo:[1,0,0] neg_hi:[1,0,0]
	v_pk_fma_f32 v[98:99], v[0:1], s[50:51], v[60:61]
	v_pk_mul_f32 v[100:101], v[24:25], s[64:65]
	s_mov_b32 s54, s65
	s_mov_b32 s55, s36
	v_pk_add_f32 v[56:57], v[104:105], v[56:57]
	v_mov_b32_e32 v63, v99
	v_pk_fma_f32 v[102:103], v[20:21], s[54:55], v[100:101] op_sel:[1,0,0] neg_lo:[1,0,0] neg_hi:[1,0,0]
	v_pk_fma_f32 v[104:105], v[2:3], s[54:55], v[100:101]
	v_pk_add_f32 v[62:63], v[32:33], v[62:63]
	v_mov_b32_e32 v103, v105
	v_pk_add_f32 v[62:63], v[102:103], v[62:63]
	v_pk_mul_f32 v[102:103], v[30:31], s[48:49]
	v_pk_add_f32 v[56:57], v[108:109], v[56:57]
	v_pk_fma_f32 v[106:107], v[22:23], s[46:47], v[102:103] neg_lo:[1,0,0] neg_hi:[1,0,0]
	v_pk_fma_f32 v[108:109], v[4:5], s[46:47], v[102:103]
	v_pk_add_f32 v[56:57], v[112:113], v[56:57]
	v_mov_b32_e32 v107, v109
	v_pk_add_f32 v[62:63], v[106:107], v[62:63]
	v_pk_mul_f32 v[106:107], v[38:39], s[38:39]
	v_pk_add_f32 v[56:57], v[116:117], v[56:57]
	v_pk_fma_f32 v[110:111], v[26:27], s[28:29], v[106:107] op_sel:[1,0,0] neg_lo:[1,0,0] neg_hi:[1,0,0]
	v_pk_fma_f32 v[112:113], v[6:7], s[28:29], v[106:107]
	v_pk_fma_f32 v[60:61], v[0:1], s[50:51], v[60:61] neg_lo:[0,0,1] neg_hi:[0,0,1]
	v_mov_b32_e32 v111, v113
	v_pk_add_f32 v[62:63], v[110:111], v[62:63]
	v_pk_mul_f32 v[110:111], v[42:43], s[24:25]
	v_mov_b32_e32 v99, v61
	v_pk_fma_f32 v[114:115], v[28:29], s[14:15], v[110:111] neg_lo:[1,0,0] neg_hi:[1,0,0]
	v_pk_fma_f32 v[116:117], v[8:9], s[14:15], v[110:111]
	v_pk_add_f32 v[56:57], v[120:121], v[56:57]
	v_mov_b32_e32 v115, v117
	v_pk_add_f32 v[62:63], v[114:115], v[62:63]
	v_pk_mul_f32 v[114:115], v[44:45], s[66:67]
	v_pk_add_f32 v[60:61], v[32:33], v[98:99]
	v_pk_fma_f32 v[118:119], v[34:35], s[60:61], v[114:115] neg_lo:[1,0,0] neg_hi:[1,0,0]
	v_pk_fma_f32 v[120:121], v[10:11], s[60:61], v[114:115]
	v_pk_fma_f32 v[98:99], v[2:3], s[54:55], v[100:101] neg_lo:[0,0,1] neg_hi:[0,0,1]
	v_mov_b32_e32 v119, v121
	v_mov_b32_e32 v105, v99
	v_pk_fma_f32 v[98:99], v[4:5], s[46:47], v[102:103] neg_lo:[0,0,1] neg_hi:[0,0,1]
	v_pk_add_f32 v[62:63], v[118:119], v[62:63]
	v_pk_mul_f32 v[118:119], v[46:47], s[26:27]
	v_pk_add_f32 v[60:61], v[104:105], v[60:61]
	v_mov_b32_e32 v109, v99
	v_pk_fma_f32 v[98:99], v[6:7], s[28:29], v[106:107] neg_lo:[0,0,1] neg_hi:[0,0,1]
	v_pk_add_f32 v[58:59], v[122:123], v[58:59]
	v_pk_add_f32 v[56:57], v[124:125], v[56:57]
	v_pk_fma_f32 v[122:123], v[36:37], s[20:21], v[118:119] neg_lo:[1,0,0] neg_hi:[1,0,0]
	v_pk_fma_f32 v[124:125], v[12:13], s[20:21], v[118:119]
	v_pk_add_f32 v[60:61], v[108:109], v[60:61]
	v_mov_b32_e32 v113, v99
	v_pk_fma_f32 v[98:99], v[8:9], s[14:15], v[110:111] neg_lo:[0,0,1] neg_hi:[0,0,1]
	v_mov_b32_e32 v123, v125
	v_pk_add_f32 v[60:61], v[112:113], v[60:61]
	v_mov_b32_e32 v117, v99
	v_pk_fma_f32 v[98:99], v[10:11], s[60:61], v[114:115] neg_lo:[0,0,1] neg_hi:[0,0,1]
	v_pk_add_f32 v[62:63], v[122:123], v[62:63]
	v_pk_mul_f32 v[122:123], v[48:49], s[22:23]
	v_pk_add_f32 v[60:61], v[116:117], v[60:61]
	v_mov_b32_e32 v121, v99
	v_pk_fma_f32 v[98:99], v[12:13], s[20:21], v[118:119] neg_lo:[0,0,1] neg_hi:[0,0,1]
	v_pk_fma_f32 v[126:127], v[40:41], s[10:11], v[122:123] op_sel:[1,0,0] neg_lo:[1,0,0] neg_hi:[1,0,0]
	v_pk_fma_f32 v[128:129], v[14:15], s[10:11], v[122:123]
	v_pk_add_f32 v[60:61], v[120:121], v[60:61]
	v_mov_b32_e32 v125, v99
	v_pk_fma_f32 v[98:99], v[14:15], s[10:11], v[122:123] neg_lo:[0,0,1] neg_hi:[0,0,1]
	v_mov_b32_e32 v127, v129
	v_pk_add_f32 v[60:61], v[124:125], v[60:61]
	v_mov_b32_e32 v129, v99
	v_pk_add_f32 v[60:61], v[128:129], v[60:61]
	v_pk_add_f32 v[62:63], v[126:127], v[62:63]
	ds_write2_b64 v54, v[60:61], v[56:57] offset0:80 offset1:96
	ds_write2_b64 v54, v[58:59], v[62:63] offset0:176 offset1:192
	v_pk_mul_f32 v[56:57], v[16:17], s[18:19]
	v_pk_mul_f32 v[62:63], v[24:25], s[24:25]
	v_pk_fma_f32 v[58:59], v[18:19], s[8:9], v[56:57] neg_lo:[1,0,0] neg_hi:[1,0,0]
	v_pk_fma_f32 v[60:61], v[0:1], s[8:9], v[56:57]
	v_pk_fma_f32 v[98:99], v[20:21], s[14:15], v[62:63] op_sel:[1,0,0] neg_lo:[1,0,0] neg_hi:[1,0,0]
	v_mov_b32_e32 v59, v61
	v_pk_fma_f32 v[100:101], v[2:3], s[14:15], v[62:63]
	v_pk_add_f32 v[58:59], v[32:33], v[58:59]
	v_mov_b32_e32 v99, v101
	v_pk_add_f32 v[58:59], v[98:99], v[58:59]
	v_pk_mul_f32 v[98:99], v[30:31], s[56:57]
	v_pk_fma_f32 v[56:57], v[0:1], s[8:9], v[56:57] neg_lo:[0,0,1] neg_hi:[0,0,1]
	v_pk_fma_f32 v[102:103], v[22:23], s[52:53], v[98:99] neg_lo:[1,0,0] neg_hi:[1,0,0]
	v_pk_fma_f32 v[104:105], v[4:5], s[52:53], v[98:99]
	v_mov_b32_e32 v61, v57
	v_mov_b32_e32 v103, v105
	v_pk_add_f32 v[58:59], v[102:103], v[58:59]
	v_pk_mul_f32 v[102:103], v[38:39], s[42:43]
	v_pk_add_f32 v[56:57], v[32:33], v[60:61]
	v_pk_fma_f32 v[106:107], v[26:27], s[34:35], v[102:103] op_sel:[1,0,0] neg_lo:[1,0,0] neg_hi:[1,0,0]
	v_pk_fma_f32 v[108:109], v[6:7], s[34:35], v[102:103]
	v_pk_fma_f32 v[60:61], v[2:3], s[14:15], v[62:63] neg_lo:[0,0,1] neg_hi:[0,0,1]
	v_mov_b32_e32 v107, v109
	v_pk_add_f32 v[58:59], v[106:107], v[58:59]
	v_pk_mul_f32 v[106:107], v[42:43], s[38:39]
	v_mov_b32_e32 v101, v61
	v_pk_fma_f32 v[110:111], v[28:29], s[28:29], v[106:107] neg_lo:[1,0,0] neg_hi:[1,0,0]
	v_pk_fma_f32 v[112:113], v[8:9], s[28:29], v[106:107]
	v_pk_fma_f32 v[60:61], v[4:5], s[52:53], v[98:99] neg_lo:[0,0,1] neg_hi:[0,0,1]
	v_mov_b32_e32 v111, v113
	v_pk_add_f32 v[58:59], v[110:111], v[58:59]
	v_pk_mul_f32 v[110:111], v[44:45], s[36:37]
	v_mov_b32_e32 v105, v61
	v_pk_fma_f32 v[114:115], v[34:35], s[30:31], v[110:111] neg_lo:[1,0,0] neg_hi:[1,0,0]
	;; [unrolled: 7-line block ×3, first 2 shown]
	v_pk_fma_f32 v[120:121], v[12:13], s[58:59], v[114:115]
	v_pk_fma_f32 v[60:61], v[8:9], s[28:29], v[106:107] neg_lo:[0,0,1] neg_hi:[0,0,1]
	v_mov_b32_e32 v119, v121
	v_mov_b32_e32 v113, v61
	v_pk_fma_f32 v[60:61], v[10:11], s[30:31], v[110:111] neg_lo:[0,0,1] neg_hi:[0,0,1]
	v_pk_add_f32 v[58:59], v[118:119], v[58:59]
	v_pk_mul_f32 v[118:119], v[48:49], s[48:49]
	v_mov_b32_e32 v117, v61
	v_pk_fma_f32 v[60:61], v[12:13], s[58:59], v[114:115] neg_lo:[0,0,1] neg_hi:[0,0,1]
	v_pk_fma_f32 v[122:123], v[40:41], s[46:47], v[118:119] op_sel:[1,0,0] neg_lo:[1,0,0] neg_hi:[1,0,0]
	v_pk_fma_f32 v[124:125], v[14:15], s[46:47], v[118:119]
	v_mov_b32_e32 v121, v61
	v_pk_fma_f32 v[60:61], v[14:15], s[46:47], v[118:119] neg_lo:[0,0,1] neg_hi:[0,0,1]
	v_mov_b32_e32 v123, v125
	v_mov_b32_e32 v125, v61
	v_pk_mul_f32 v[60:61], v[16:17], s[38:39]
	v_pk_add_f32 v[56:57], v[100:101], v[56:57]
	v_pk_fma_f32 v[62:63], v[18:19], s[28:29], v[60:61] neg_lo:[1,0,0] neg_hi:[1,0,0]
	v_pk_fma_f32 v[98:99], v[0:1], s[28:29], v[60:61]
	v_pk_mul_f32 v[100:101], v[24:25], s[22:23]
	v_pk_add_f32 v[56:57], v[104:105], v[56:57]
	v_mov_b32_e32 v63, v99
	v_pk_fma_f32 v[102:103], v[20:21], s[10:11], v[100:101] op_sel:[1,0,0] neg_lo:[1,0,0] neg_hi:[1,0,0]
	v_pk_fma_f32 v[104:105], v[2:3], s[10:11], v[100:101]
	v_pk_add_f32 v[62:63], v[32:33], v[62:63]
	v_mov_b32_e32 v103, v105
	s_mov_b32 s39, 0x3e3c28d5
	s_mov_b32 s38, s24
	v_pk_add_f32 v[62:63], v[102:103], v[62:63]
	v_pk_mul_f32 v[102:103], v[30:31], s[38:39]
	s_mov_b32 s38, s39
	s_mov_b32 s39, s24
	v_pk_add_f32 v[56:57], v[108:109], v[56:57]
	v_pk_fma_f32 v[106:107], v[22:23], s[38:39], v[102:103] neg_lo:[1,0,0] neg_hi:[1,0,0]
	v_pk_fma_f32 v[108:109], v[4:5], s[38:39], v[102:103]
	v_pk_add_f32 v[56:57], v[112:113], v[56:57]
	v_mov_b32_e32 v107, v109
	v_pk_add_f32 v[62:63], v[106:107], v[62:63]
	v_pk_mul_f32 v[106:107], v[38:39], s[56:57]
	v_pk_add_f32 v[56:57], v[116:117], v[56:57]
	v_pk_fma_f32 v[110:111], v[26:27], s[52:53], v[106:107] op_sel:[1,0,0] neg_lo:[1,0,0] neg_hi:[1,0,0]
	v_pk_fma_f32 v[112:113], v[6:7], s[52:53], v[106:107]
	v_pk_fma_f32 v[60:61], v[0:1], s[28:29], v[60:61] neg_lo:[0,0,1] neg_hi:[0,0,1]
	v_mov_b32_e32 v111, v113
	v_pk_add_f32 v[62:63], v[110:111], v[62:63]
	v_pk_mul_f32 v[110:111], v[42:43], s[48:49]
	v_mov_b32_e32 v99, v61
	v_pk_fma_f32 v[114:115], v[28:29], s[46:47], v[110:111] neg_lo:[1,0,0] neg_hi:[1,0,0]
	v_pk_fma_f32 v[116:117], v[8:9], s[46:47], v[110:111]
	v_pk_add_f32 v[56:57], v[120:121], v[56:57]
	v_mov_b32_e32 v115, v117
	v_pk_add_f32 v[62:63], v[114:115], v[62:63]
	v_pk_mul_f32 v[114:115], v[44:45], s[26:27]
	v_pk_add_f32 v[60:61], v[32:33], v[98:99]
	v_pk_fma_f32 v[118:119], v[34:35], s[20:21], v[114:115] neg_lo:[1,0,0] neg_hi:[1,0,0]
	v_pk_fma_f32 v[120:121], v[10:11], s[20:21], v[114:115]
	v_pk_fma_f32 v[98:99], v[2:3], s[10:11], v[100:101] neg_lo:[0,0,1] neg_hi:[0,0,1]
	v_mov_b32_e32 v119, v121
	v_mov_b32_e32 v105, v99
	v_pk_fma_f32 v[98:99], v[4:5], s[38:39], v[102:103] neg_lo:[0,0,1] neg_hi:[0,0,1]
	v_pk_add_f32 v[62:63], v[118:119], v[62:63]
	v_pk_mul_f32 v[118:119], v[46:47], s[18:19]
	v_pk_add_f32 v[60:61], v[104:105], v[60:61]
	v_mov_b32_e32 v109, v99
	v_pk_fma_f32 v[98:99], v[6:7], s[52:53], v[106:107] neg_lo:[0,0,1] neg_hi:[0,0,1]
	v_pk_add_f32 v[58:59], v[122:123], v[58:59]
	v_pk_add_f32 v[56:57], v[124:125], v[56:57]
	v_pk_fma_f32 v[122:123], v[36:37], s[8:9], v[118:119] neg_lo:[1,0,0] neg_hi:[1,0,0]
	v_pk_fma_f32 v[124:125], v[12:13], s[8:9], v[118:119]
	v_pk_add_f32 v[60:61], v[108:109], v[60:61]
	v_mov_b32_e32 v113, v99
	v_pk_fma_f32 v[98:99], v[8:9], s[46:47], v[110:111] neg_lo:[0,0,1] neg_hi:[0,0,1]
	v_mov_b32_e32 v123, v125
	v_pk_add_f32 v[60:61], v[112:113], v[60:61]
	v_mov_b32_e32 v117, v99
	v_pk_fma_f32 v[98:99], v[10:11], s[20:21], v[114:115] neg_lo:[0,0,1] neg_hi:[0,0,1]
	v_pk_add_f32 v[62:63], v[122:123], v[62:63]
	v_pk_mul_f32 v[122:123], v[48:49], s[36:37]
	v_pk_add_f32 v[60:61], v[116:117], v[60:61]
	v_mov_b32_e32 v121, v99
	v_pk_fma_f32 v[98:99], v[12:13], s[8:9], v[118:119] neg_lo:[0,0,1] neg_hi:[0,0,1]
	v_pk_fma_f32 v[126:127], v[40:41], s[30:31], v[122:123] op_sel:[1,0,0] neg_lo:[1,0,0] neg_hi:[1,0,0]
	v_pk_fma_f32 v[128:129], v[14:15], s[30:31], v[122:123]
	v_pk_add_f32 v[60:61], v[120:121], v[60:61]
	v_mov_b32_e32 v125, v99
	v_pk_fma_f32 v[98:99], v[14:15], s[30:31], v[122:123] neg_lo:[0,0,1] neg_hi:[0,0,1]
	v_mov_b32_e32 v127, v129
	v_pk_add_f32 v[60:61], v[124:125], v[60:61]
	v_mov_b32_e32 v129, v99
	v_pk_add_f32 v[60:61], v[128:129], v[60:61]
	v_pk_mul_f32 v[16:17], v[16:17], s[16:17]
	v_pk_add_f32 v[62:63], v[126:127], v[62:63]
	ds_write2_b64 v54, v[60:61], v[56:57] offset0:48 offset1:64
	ds_write2_b64 v54, v[58:59], v[62:63] offset0:208 offset1:224
	v_pk_fma_f32 v[18:19], v[18:19], s[2:3], v[16:17] neg_lo:[1,0,0] neg_hi:[1,0,0]
	v_pk_fma_f32 v[56:57], v[0:1], s[2:3], v[16:17]
	v_pk_mul_f32 v[24:25], v[24:25], s[18:19]
	v_mov_b32_e32 v19, v57
	v_pk_fma_f32 v[20:21], v[20:21], s[8:9], v[24:25] op_sel:[1,0,0] neg_lo:[1,0,0] neg_hi:[1,0,0]
	v_pk_fma_f32 v[58:59], v[2:3], s[8:9], v[24:25]
	v_pk_add_f32 v[18:19], v[32:33], v[18:19]
	v_pk_mul_f32 v[30:31], v[30:31], s[22:23]
	v_mov_b32_e32 v21, v59
	v_pk_add_f32 v[18:19], v[20:21], v[18:19]
	v_pk_fma_f32 v[20:21], v[22:23], s[10:11], v[30:31] neg_lo:[1,0,0] neg_hi:[1,0,0]
	v_pk_fma_f32 v[22:23], v[4:5], s[10:11], v[30:31]
	v_pk_mul_f32 v[38:39], v[38:39], s[24:25]
	v_mov_b32_e32 v21, v23
	v_pk_add_f32 v[18:19], v[20:21], v[18:19]
	v_pk_fma_f32 v[20:21], v[26:27], s[14:15], v[38:39] op_sel:[1,0,0] neg_lo:[1,0,0] neg_hi:[1,0,0]
	v_pk_fma_f32 v[26:27], v[6:7], s[14:15], v[38:39]
	v_pk_mul_f32 v[42:43], v[42:43], s[64:65]
	v_mov_b32_e32 v21, v27
	v_pk_fma_f32 v[0:1], v[0:1], s[2:3], v[16:17] neg_lo:[0,0,1] neg_hi:[0,0,1]
	v_pk_add_f32 v[18:19], v[20:21], v[18:19]
	v_pk_fma_f32 v[20:21], v[28:29], s[54:55], v[42:43] neg_lo:[1,0,0] neg_hi:[1,0,0]
	v_pk_fma_f32 v[28:29], v[8:9], s[54:55], v[42:43]
	v_mov_b32_e32 v57, v1
	v_pk_fma_f32 v[2:3], v[2:3], s[8:9], v[24:25] neg_lo:[0,0,1] neg_hi:[0,0,1]
	v_pk_mul_f32 v[44:45], v[44:45], s[56:57]
	v_mov_b32_e32 v21, v29
	v_pk_add_f32 v[0:1], v[32:33], v[56:57]
	v_mov_b32_e32 v59, v3
	v_pk_fma_f32 v[2:3], v[4:5], s[10:11], v[30:31] neg_lo:[0,0,1] neg_hi:[0,0,1]
	v_pk_add_f32 v[18:19], v[20:21], v[18:19]
	v_pk_fma_f32 v[20:21], v[34:35], s[52:53], v[44:45] neg_lo:[1,0,0] neg_hi:[1,0,0]
	v_pk_fma_f32 v[34:35], v[10:11], s[52:53], v[44:45]
	v_pk_add_f32 v[0:1], v[58:59], v[0:1]
	v_mov_b32_e32 v23, v3
	v_pk_fma_f32 v[2:3], v[6:7], s[14:15], v[38:39] neg_lo:[0,0,1] neg_hi:[0,0,1]
	v_pk_mul_f32 v[46:47], v[46:47], s[44:45]
	v_mov_b32_e32 v21, v35
	v_pk_add_f32 v[0:1], v[22:23], v[0:1]
	v_mov_b32_e32 v27, v3
	v_pk_fma_f32 v[2:3], v[8:9], s[54:55], v[42:43] neg_lo:[0,0,1] neg_hi:[0,0,1]
	v_pk_add_f32 v[18:19], v[20:21], v[18:19]
	v_pk_fma_f32 v[20:21], v[36:37], s[40:41], v[46:47] neg_lo:[1,0,0] neg_hi:[1,0,0]
	v_pk_fma_f32 v[36:37], v[12:13], s[40:41], v[46:47]
	v_pk_add_f32 v[0:1], v[26:27], v[0:1]
	v_mov_b32_e32 v29, v3
	v_pk_fma_f32 v[2:3], v[10:11], s[52:53], v[44:45] neg_lo:[0,0,1] neg_hi:[0,0,1]
	v_pk_mul_f32 v[48:49], v[48:49], s[42:43]
	v_mov_b32_e32 v21, v37
	v_pk_add_f32 v[0:1], v[28:29], v[0:1]
	v_mov_b32_e32 v35, v3
	v_pk_fma_f32 v[2:3], v[12:13], s[40:41], v[46:47] neg_lo:[0,0,1] neg_hi:[0,0,1]
	v_pk_add_f32 v[18:19], v[20:21], v[18:19]
	v_pk_fma_f32 v[20:21], v[40:41], s[34:35], v[48:49] op_sel:[1,0,0] neg_lo:[1,0,0] neg_hi:[1,0,0]
	v_pk_fma_f32 v[40:41], v[14:15], s[34:35], v[48:49]
	v_pk_add_f32 v[0:1], v[34:35], v[0:1]
	v_mov_b32_e32 v37, v3
	v_pk_fma_f32 v[2:3], v[14:15], s[34:35], v[48:49] neg_lo:[0,0,1] neg_hi:[0,0,1]
	v_mov_b32_e32 v21, v41
	v_pk_add_f32 v[0:1], v[36:37], v[0:1]
	v_mov_b32_e32 v41, v3
	v_pk_add_f32 v[0:1], v[40:41], v[0:1]
	v_pk_add_f32 v[18:19], v[20:21], v[18:19]
	ds_write2_b64 v54, v[52:53], v[0:1] offset0:16 offset1:32
	v_add_u32_e32 v0, 0x400, v54
	ds_write2_b64 v0, v[18:19], v[50:51] offset0:112 offset1:128
.LBB0_9:
	s_or_b64 exec, exec, s[0:1]
	s_waitcnt lgkmcnt(0)
	s_barrier
	ds_read2_b64 v[0:3], v83 offset1:17
	v_mad_u64_u32 v[6:7], s[0:1], s6, v82, 0
	v_mov_b32_e32 v8, v7
	v_mad_u64_u32 v[8:9], s[0:1], s7, v82, v[8:9]
	v_mov_b32_e32 v7, v8
	s_waitcnt lgkmcnt(0)
	v_mul_f32_e32 v8, v97, v1
	v_fmac_f32_e32 v8, v96, v0
	v_mul_f32_e32 v0, v97, v0
	s_mov_b32 s0, 0x1e1e1e1e
	v_fma_f32 v0, v96, v1, -v0
	v_cvt_f64_f32_e32 v[8:9], v8
	s_mov_b32 s1, 0x3f6e1e1e
	v_cvt_f64_f32_e32 v[0:1], v0
	v_mul_f64 v[8:9], v[8:9], s[0:1]
	v_mul_f64 v[0:1], v[0:1], s[0:1]
	v_cvt_f32_f64_e32 v8, v[8:9]
	v_cvt_f32_f64_e32 v9, v[0:1]
	v_mad_u64_u32 v[0:1], s[2:3], s4, v174, 0
	v_mov_b32_e32 v10, v1
	v_mov_b32_e32 v4, s12
	;; [unrolled: 1-line block ×3, first 2 shown]
	v_mad_u64_u32 v[10:11], s[2:3], s5, v174, v[10:11]
	v_mov_b32_e32 v1, v10
	v_lshl_add_u64 v[4:5], v[6:7], 3, v[4:5]
	v_lshl_add_u64 v[4:5], v[0:1], 3, v[4:5]
	v_mul_f32_e32 v0, v95, v3
	v_fmac_f32_e32 v0, v94, v2
	v_cvt_f64_f32_e32 v[0:1], v0
	v_mul_f64 v[0:1], v[0:1], s[0:1]
	v_cvt_f32_f64_e32 v6, v[0:1]
	v_mul_f32_e32 v0, v95, v2
	v_fma_f32 v0, v94, v3, -v0
	v_cvt_f64_f32_e32 v[0:1], v0
	v_mul_f64 v[0:1], v[0:1], s[0:1]
	v_cvt_f32_f64_e32 v7, v[0:1]
	ds_read2_b64 v[0:3], v83 offset0:34 offset1:51
	global_store_dwordx2 v[4:5], v[8:9], off
	v_mov_b32_e32 v8, 0x88
	v_mad_u64_u32 v[4:5], s[2:3], s4, v8, v[4:5]
	s_mul_i32 s2, s5, 0x88
	s_nop 0
	v_add_u32_e32 v5, s2, v5
	global_store_dwordx2 v[4:5], v[6:7], off
	s_waitcnt lgkmcnt(0)
	v_mul_f32_e32 v6, v91, v1
	v_fmac_f32_e32 v6, v90, v0
	v_mul_f32_e32 v0, v91, v0
	v_fma_f32 v0, v90, v1, -v0
	v_cvt_f64_f32_e32 v[6:7], v6
	v_cvt_f64_f32_e32 v[0:1], v0
	v_mul_f64 v[6:7], v[6:7], s[0:1]
	v_mul_f64 v[0:1], v[0:1], s[0:1]
	v_cvt_f32_f64_e32 v6, v[6:7]
	v_cvt_f32_f64_e32 v7, v[0:1]
	v_mul_f32_e32 v0, v87, v3
	v_fmac_f32_e32 v0, v86, v2
	v_mad_u64_u32 v[4:5], s[6:7], s4, v8, v[4:5]
	v_cvt_f64_f32_e32 v[0:1], v0
	v_add_u32_e32 v5, s2, v5
	v_mul_f64 v[0:1], v[0:1], s[0:1]
	global_store_dwordx2 v[4:5], v[6:7], off
	v_cvt_f32_f64_e32 v6, v[0:1]
	v_mul_f32_e32 v0, v87, v2
	v_fma_f32 v0, v86, v3, -v0
	v_cvt_f64_f32_e32 v[0:1], v0
	v_mul_f64 v[0:1], v[0:1], s[0:1]
	v_cvt_f32_f64_e32 v7, v[0:1]
	ds_read2_b64 v[0:3], v83 offset0:68 offset1:85
	v_mad_u64_u32 v[4:5], s[6:7], s4, v8, v[4:5]
	v_add_u32_e32 v5, s2, v5
	global_store_dwordx2 v[4:5], v[6:7], off
	s_waitcnt lgkmcnt(0)
	v_mul_f32_e32 v6, v93, v1
	v_fmac_f32_e32 v6, v92, v0
	v_mul_f32_e32 v0, v93, v0
	v_fma_f32 v0, v92, v1, -v0
	v_cvt_f64_f32_e32 v[6:7], v6
	v_cvt_f64_f32_e32 v[0:1], v0
	v_mul_f64 v[6:7], v[6:7], s[0:1]
	v_mul_f64 v[0:1], v[0:1], s[0:1]
	v_cvt_f32_f64_e32 v6, v[6:7]
	v_cvt_f32_f64_e32 v7, v[0:1]
	v_mul_f32_e32 v0, v89, v3
	v_fmac_f32_e32 v0, v88, v2
	v_mad_u64_u32 v[4:5], s[6:7], s4, v8, v[4:5]
	v_cvt_f64_f32_e32 v[0:1], v0
	v_add_u32_e32 v5, s2, v5
	v_mul_f64 v[0:1], v[0:1], s[0:1]
	global_store_dwordx2 v[4:5], v[6:7], off
	v_cvt_f32_f64_e32 v6, v[0:1]
	v_mul_f32_e32 v0, v89, v2
	v_fma_f32 v0, v88, v3, -v0
	v_cvt_f64_f32_e32 v[0:1], v0
	v_mul_f64 v[0:1], v[0:1], s[0:1]
	v_cvt_f32_f64_e32 v7, v[0:1]
	ds_read2_b64 v[0:3], v83 offset0:102 offset1:119
	v_mad_u64_u32 v[4:5], s[6:7], s4, v8, v[4:5]
	;; [unrolled: 28-line block ×6, first 2 shown]
	v_add_u32_e32 v5, s2, v5
	global_store_dwordx2 v[4:5], v[6:7], off
	s_waitcnt lgkmcnt(0)
	v_mul_f32_e32 v6, v67, v1
	v_fmac_f32_e32 v6, v66, v0
	v_mul_f32_e32 v0, v67, v0
	v_fma_f32 v0, v66, v1, -v0
	v_cvt_f64_f32_e32 v[6:7], v6
	v_cvt_f64_f32_e32 v[0:1], v0
	v_mul_f64 v[6:7], v[6:7], s[0:1]
	v_mul_f64 v[0:1], v[0:1], s[0:1]
	v_cvt_f32_f64_e32 v6, v[6:7]
	v_cvt_f32_f64_e32 v7, v[0:1]
	v_mad_u64_u32 v[0:1], s[6:7], s4, v8, v[4:5]
	v_mul_f32_e32 v4, v65, v3
	v_fmac_f32_e32 v4, v64, v2
	v_mul_f32_e32 v2, v65, v2
	v_fma_f32 v2, v64, v3, -v2
	v_add_u32_e32 v1, s2, v1
	v_cvt_f64_f32_e32 v[4:5], v4
	v_cvt_f64_f32_e32 v[2:3], v2
	global_store_dwordx2 v[0:1], v[6:7], off
	v_mul_f64 v[4:5], v[4:5], s[0:1]
	v_mul_f64 v[2:3], v[2:3], s[0:1]
	v_mad_u64_u32 v[0:1], s[0:1], s4, v8, v[0:1]
	v_cvt_f32_f64_e32 v4, v[4:5]
	v_cvt_f32_f64_e32 v5, v[2:3]
	v_add_u32_e32 v1, s2, v1
	global_store_dwordx2 v[0:1], v[4:5], off
.LBB0_10:
	s_endpgm
.LBB0_11:
	v_mov_b32_e32 v36, v39
	v_mov_b32_e32 v37, v45
	;; [unrolled: 1-line block ×6, first 2 shown]
	s_andn2_saveexec_b64 s[0:1], s[0:1]
	s_cbranch_execz .LBB0_7
.LBB0_12:
	ds_read2_b64 v[32:35], v83 offset1:16
	ds_read2_b64 v[48:51], v83 offset0:32 offset1:48
	ds_read2_b64 v[60:63], v83 offset0:64 offset1:80
	;; [unrolled: 1-line block ×7, first 2 shown]
	ds_read_b64 v[102:103], v83 offset:2048
	s_waitcnt lgkmcnt(6)
	v_mov_b32_e32 v98, v63
	v_mov_b32_e32 v99, v61
	;; [unrolled: 1-line block ×6, first 2 shown]
	s_waitcnt lgkmcnt(4)
	v_mov_b32_e32 v48, v42
	v_mov_b32_e32 v49, v43
	s_or_b64 exec, exec, s[0:1]
	s_and_saveexec_b64 s[0:1], vcc
	s_cbranch_execnz .LBB0_8
	s_branch .LBB0_9
	.section	.rodata,"a",@progbits
	.p2align	6, 0x0
	.amdhsa_kernel bluestein_single_back_len272_dim1_sp_op_CI_CI
		.amdhsa_group_segment_fixed_size 15232
		.amdhsa_private_segment_fixed_size 0
		.amdhsa_kernarg_size 104
		.amdhsa_user_sgpr_count 2
		.amdhsa_user_sgpr_dispatch_ptr 0
		.amdhsa_user_sgpr_queue_ptr 0
		.amdhsa_user_sgpr_kernarg_segment_ptr 1
		.amdhsa_user_sgpr_dispatch_id 0
		.amdhsa_user_sgpr_kernarg_preload_length 0
		.amdhsa_user_sgpr_kernarg_preload_offset 0
		.amdhsa_user_sgpr_private_segment_size 0
		.amdhsa_uses_dynamic_stack 0
		.amdhsa_enable_private_segment 0
		.amdhsa_system_sgpr_workgroup_id_x 1
		.amdhsa_system_sgpr_workgroup_id_y 0
		.amdhsa_system_sgpr_workgroup_id_z 0
		.amdhsa_system_sgpr_workgroup_info 0
		.amdhsa_system_vgpr_workitem_id 0
		.amdhsa_next_free_vgpr 178
		.amdhsa_next_free_sgpr 68
		.amdhsa_accum_offset 180
		.amdhsa_reserve_vcc 1
		.amdhsa_float_round_mode_32 0
		.amdhsa_float_round_mode_16_64 0
		.amdhsa_float_denorm_mode_32 3
		.amdhsa_float_denorm_mode_16_64 3
		.amdhsa_dx10_clamp 1
		.amdhsa_ieee_mode 1
		.amdhsa_fp16_overflow 0
		.amdhsa_tg_split 0
		.amdhsa_exception_fp_ieee_invalid_op 0
		.amdhsa_exception_fp_denorm_src 0
		.amdhsa_exception_fp_ieee_div_zero 0
		.amdhsa_exception_fp_ieee_overflow 0
		.amdhsa_exception_fp_ieee_underflow 0
		.amdhsa_exception_fp_ieee_inexact 0
		.amdhsa_exception_int_div_zero 0
	.end_amdhsa_kernel
	.text
.Lfunc_end0:
	.size	bluestein_single_back_len272_dim1_sp_op_CI_CI, .Lfunc_end0-bluestein_single_back_len272_dim1_sp_op_CI_CI
                                        ; -- End function
	.section	.AMDGPU.csdata,"",@progbits
; Kernel info:
; codeLenInByte = 16064
; NumSgprs: 74
; NumVgprs: 178
; NumAgprs: 0
; TotalNumVgprs: 178
; ScratchSize: 0
; MemoryBound: 0
; FloatMode: 240
; IeeeMode: 1
; LDSByteSize: 15232 bytes/workgroup (compile time only)
; SGPRBlocks: 9
; VGPRBlocks: 22
; NumSGPRsForWavesPerEU: 74
; NumVGPRsForWavesPerEU: 178
; AccumOffset: 180
; Occupancy: 2
; WaveLimiterHint : 1
; COMPUTE_PGM_RSRC2:SCRATCH_EN: 0
; COMPUTE_PGM_RSRC2:USER_SGPR: 2
; COMPUTE_PGM_RSRC2:TRAP_HANDLER: 0
; COMPUTE_PGM_RSRC2:TGID_X_EN: 1
; COMPUTE_PGM_RSRC2:TGID_Y_EN: 0
; COMPUTE_PGM_RSRC2:TGID_Z_EN: 0
; COMPUTE_PGM_RSRC2:TIDIG_COMP_CNT: 0
; COMPUTE_PGM_RSRC3_GFX90A:ACCUM_OFFSET: 44
; COMPUTE_PGM_RSRC3_GFX90A:TG_SPLIT: 0
	.text
	.p2alignl 6, 3212836864
	.fill 256, 4, 3212836864
	.type	__hip_cuid_c7c918135d4b7e50,@object ; @__hip_cuid_c7c918135d4b7e50
	.section	.bss,"aw",@nobits
	.globl	__hip_cuid_c7c918135d4b7e50
__hip_cuid_c7c918135d4b7e50:
	.byte	0                               ; 0x0
	.size	__hip_cuid_c7c918135d4b7e50, 1

	.ident	"AMD clang version 19.0.0git (https://github.com/RadeonOpenCompute/llvm-project roc-6.4.0 25133 c7fe45cf4b819c5991fe208aaa96edf142730f1d)"
	.section	".note.GNU-stack","",@progbits
	.addrsig
	.addrsig_sym __hip_cuid_c7c918135d4b7e50
	.amdgpu_metadata
---
amdhsa.kernels:
  - .agpr_count:     0
    .args:
      - .actual_access:  read_only
        .address_space:  global
        .offset:         0
        .size:           8
        .value_kind:     global_buffer
      - .actual_access:  read_only
        .address_space:  global
        .offset:         8
        .size:           8
        .value_kind:     global_buffer
      - .actual_access:  read_only
        .address_space:  global
        .offset:         16
        .size:           8
        .value_kind:     global_buffer
      - .actual_access:  read_only
        .address_space:  global
        .offset:         24
        .size:           8
        .value_kind:     global_buffer
      - .actual_access:  read_only
        .address_space:  global
        .offset:         32
        .size:           8
        .value_kind:     global_buffer
      - .offset:         40
        .size:           8
        .value_kind:     by_value
      - .address_space:  global
        .offset:         48
        .size:           8
        .value_kind:     global_buffer
      - .address_space:  global
        .offset:         56
        .size:           8
        .value_kind:     global_buffer
      - .address_space:  global
        .offset:         64
        .size:           8
        .value_kind:     global_buffer
      - .address_space:  global
        .offset:         72
        .size:           8
        .value_kind:     global_buffer
      - .offset:         80
        .size:           4
        .value_kind:     by_value
      - .address_space:  global
        .offset:         88
        .size:           8
        .value_kind:     global_buffer
      - .address_space:  global
        .offset:         96
        .size:           8
        .value_kind:     global_buffer
    .group_segment_fixed_size: 15232
    .kernarg_segment_align: 8
    .kernarg_segment_size: 104
    .language:       OpenCL C
    .language_version:
      - 2
      - 0
    .max_flat_workgroup_size: 119
    .name:           bluestein_single_back_len272_dim1_sp_op_CI_CI
    .private_segment_fixed_size: 0
    .sgpr_count:     74
    .sgpr_spill_count: 0
    .symbol:         bluestein_single_back_len272_dim1_sp_op_CI_CI.kd
    .uniform_work_group_size: 1
    .uses_dynamic_stack: false
    .vgpr_count:     178
    .vgpr_spill_count: 0
    .wavefront_size: 64
amdhsa.target:   amdgcn-amd-amdhsa--gfx950
amdhsa.version:
  - 1
  - 2
...

	.end_amdgpu_metadata
